;; amdgpu-corpus repo=ROCm/rocFFT kind=compiled arch=gfx950 opt=O3
	.text
	.amdgcn_target "amdgcn-amd-amdhsa--gfx950"
	.amdhsa_code_object_version 6
	.protected	fft_rtc_back_len208_factors_2_8_13_wgs_247_tpt_13_dim3_sp_ip_CI_sbcc_twdbase8_2step_dirReg_intrinsicReadWrite ; -- Begin function fft_rtc_back_len208_factors_2_8_13_wgs_247_tpt_13_dim3_sp_ip_CI_sbcc_twdbase8_2step_dirReg_intrinsicReadWrite
	.globl	fft_rtc_back_len208_factors_2_8_13_wgs_247_tpt_13_dim3_sp_ip_CI_sbcc_twdbase8_2step_dirReg_intrinsicReadWrite
	.p2align	8
	.type	fft_rtc_back_len208_factors_2_8_13_wgs_247_tpt_13_dim3_sp_ip_CI_sbcc_twdbase8_2step_dirReg_intrinsicReadWrite,@function
fft_rtc_back_len208_factors_2_8_13_wgs_247_tpt_13_dim3_sp_ip_CI_sbcc_twdbase8_2step_dirReg_intrinsicReadWrite: ; @fft_rtc_back_len208_factors_2_8_13_wgs_247_tpt_13_dim3_sp_ip_CI_sbcc_twdbase8_2step_dirReg_intrinsicReadWrite
; %bb.0:
	s_load_dwordx4 s[4:7], s[0:1], 0x10
	s_mov_b32 s3, 0
	s_waitcnt lgkmcnt(0)
	s_load_dwordx2 s[12:13], s[4:5], 0x8
	s_waitcnt lgkmcnt(0)
	s_add_u32 s8, s12, -1
	s_addc_u32 s9, s13, -1
	s_add_u32 s10, 0, 0x50d6f500
	s_addc_u32 s11, 0, 46
	s_mul_hi_u32 s15, s10, 0xffffffed
	s_add_i32 s11, s11, 0xd794330
	s_sub_i32 s15, s15, s10
	s_mul_i32 s18, s11, 0xffffffed
	s_mul_i32 s14, s10, 0xffffffed
	s_add_i32 s15, s15, s18
	s_mul_hi_u32 s16, s11, s14
	s_mul_i32 s17, s11, s14
	s_mul_i32 s19, s10, s15
	s_mul_hi_u32 s14, s10, s14
	s_mul_hi_u32 s18, s10, s15
	s_add_u32 s14, s14, s19
	s_addc_u32 s18, 0, s18
	s_add_u32 s14, s14, s17
	s_mul_hi_u32 s19, s11, s15
	s_addc_u32 s14, s18, s16
	s_addc_u32 s16, s19, 0
	s_mul_i32 s15, s11, s15
	s_add_u32 s14, s14, s15
	v_mov_b32_e32 v1, s14
	s_addc_u32 s15, 0, s16
	v_add_co_u32_e32 v1, vcc, s10, v1
	s_cmp_lg_u64 vcc, 0
	s_addc_u32 s10, s11, s15
	v_readfirstlane_b32 s15, v1
	s_mul_i32 s14, s8, s10
	s_mul_hi_u32 s16, s8, s15
	s_mul_hi_u32 s11, s8, s10
	s_add_u32 s14, s16, s14
	s_addc_u32 s11, 0, s11
	s_mul_hi_u32 s17, s9, s15
	s_mul_i32 s15, s9, s15
	s_add_u32 s14, s14, s15
	s_mul_hi_u32 s16, s9, s10
	s_addc_u32 s11, s11, s17
	s_addc_u32 s14, s16, 0
	s_mul_i32 s10, s9, s10
	s_add_u32 s10, s11, s10
	s_addc_u32 s11, 0, s14
	s_add_u32 s14, s10, 1
	s_addc_u32 s15, s11, 0
	s_add_u32 s16, s10, 2
	s_mul_i32 s18, s11, 19
	s_mul_hi_u32 s19, s10, 19
	s_addc_u32 s17, s11, 0
	s_add_i32 s19, s19, s18
	s_mul_i32 s18, s10, 19
	v_mov_b32_e32 v1, s18
	v_sub_co_u32_e32 v1, vcc, s8, v1
	s_cmp_lg_u64 vcc, 0
	s_subb_u32 s8, s9, s19
	v_subrev_co_u32_e32 v2, vcc, 19, v1
	s_cmp_lg_u64 vcc, 0
	s_subb_u32 s9, s8, 0
	v_readfirstlane_b32 s18, v2
	s_cmp_gt_u32 s18, 18
	s_cselect_b32 s18, -1, 0
	s_cmp_eq_u32 s9, 0
	s_cselect_b32 s9, s18, -1
	s_cmp_lg_u32 s9, 0
	s_cselect_b32 s9, s16, s14
	s_cselect_b32 s14, s17, s15
	v_readfirstlane_b32 s15, v1
	s_cmp_gt_u32 s15, 18
	s_cselect_b32 s15, -1, 0
	s_cmp_eq_u32 s8, 0
	s_cselect_b32 s8, s15, -1
	s_cmp_lg_u32 s8, 0
	s_cselect_b32 s9, s9, s10
	s_cselect_b32 s8, s14, s11
	s_add_u32 s14, s9, 1
	s_addc_u32 s15, s8, 0
	v_mov_b64_e32 v[2:3], s[14:15]
	v_cmp_lt_u64_e32 vcc, s[2:3], v[2:3]
	s_mov_b64 s[18:19], 0
	s_cbranch_vccnz .LBB0_2
; %bb.1:
	v_cvt_f32_u32_e32 v1, s14
	s_sub_i32 s8, 0, s14
	s_mov_b32 s19, s3
	v_rcp_iflag_f32_e32 v1, v1
	s_nop 0
	v_mul_f32_e32 v1, 0x4f7ffffe, v1
	v_cvt_u32_f32_e32 v1, v1
	s_nop 0
	v_readfirstlane_b32 s9, v1
	s_mul_i32 s8, s8, s9
	s_mul_hi_u32 s8, s9, s8
	s_add_i32 s9, s9, s8
	s_mul_hi_u32 s8, s2, s9
	s_mul_i32 s10, s8, s14
	s_sub_i32 s10, s2, s10
	s_add_i32 s9, s8, 1
	s_sub_i32 s11, s10, s14
	s_cmp_ge_u32 s10, s14
	s_cselect_b32 s8, s9, s8
	s_cselect_b32 s10, s11, s10
	s_add_i32 s9, s8, 1
	s_cmp_ge_u32 s10, s14
	s_cselect_b32 s18, s9, s8
.LBB0_2:
	s_load_dwordx2 s[10:11], s[4:5], 0x10
	s_load_dwordx2 s[16:17], s[6:7], 0x8
	s_mov_b64 s[4:5], s[18:19]
	s_waitcnt lgkmcnt(0)
	v_mov_b64_e32 v[2:3], s[10:11]
	v_cmp_lt_u64_e32 vcc, s[18:19], v[2:3]
	s_cbranch_vccnz .LBB0_4
; %bb.3:
	v_cvt_f32_u32_e32 v1, s10
	s_sub_i32 s4, 0, s10
	v_rcp_iflag_f32_e32 v1, v1
	s_nop 0
	v_mul_f32_e32 v1, 0x4f7ffffe, v1
	v_cvt_u32_f32_e32 v1, v1
	s_nop 0
	v_readfirstlane_b32 s5, v1
	s_mul_i32 s4, s4, s5
	s_mul_hi_u32 s4, s5, s4
	s_add_i32 s5, s5, s4
	s_mul_hi_u32 s4, s18, s5
	s_mul_i32 s4, s4, s10
	s_sub_i32 s4, s18, s4
	s_sub_i32 s5, s4, s10
	s_cmp_ge_u32 s4, s10
	s_cselect_b32 s4, s5, s4
	s_sub_i32 s5, s4, s10
	s_cmp_ge_u32 s4, s10
	s_cselect_b32 s4, s5, s4
.LBB0_4:
	s_mul_i32 s5, s10, s15
	s_mul_hi_u32 s17, s10, s14
	s_add_i32 s5, s17, s5
	s_mul_i32 s11, s11, s14
	s_load_dwordx2 s[8:9], s[0:1], 0x50
	s_add_i32 s23, s5, s11
	s_mul_i32 s22, s10, s14
	s_load_dwordx2 s[10:11], s[6:7], 0x0
	s_load_dwordx2 s[20:21], s[6:7], 0x10
	v_mov_b64_e32 v[2:3], s[22:23]
	v_cmp_lt_u64_e32 vcc, s[2:3], v[2:3]
	s_mov_b64 s[24:25], 0
	s_cbranch_vccnz .LBB0_6
; %bb.5:
	v_cvt_f32_u32_e32 v1, s22
	s_sub_i32 s3, 0, s22
	v_rcp_iflag_f32_e32 v1, v1
	s_nop 0
	v_mul_f32_e32 v1, 0x4f7ffffe, v1
	v_cvt_u32_f32_e32 v1, v1
	s_nop 0
	v_readfirstlane_b32 s5, v1
	s_mul_i32 s3, s3, s5
	s_mul_hi_u32 s3, s5, s3
	s_add_i32 s5, s5, s3
	s_mul_hi_u32 s3, s2, s5
	s_waitcnt lgkmcnt(0)
	s_mul_i32 s11, s3, s22
	s_sub_i32 s11, s2, s11
	s_add_i32 s5, s3, 1
	s_sub_i32 s17, s11, s22
	s_cmp_ge_u32 s11, s22
	s_cselect_b32 s3, s5, s3
	s_cselect_b32 s11, s17, s11
	s_add_i32 s5, s3, 1
	s_cmp_ge_u32 s11, s22
	s_cselect_b32 s24, s5, s3
.LBB0_6:
	s_mul_i32 s3, s18, s15
	s_mul_hi_u32 s5, s18, s14
	s_add_i32 s5, s5, s3
	s_mul_i32 s3, s18, s14
	s_sub_u32 s14, s2, s3
	s_subb_u32 s2, 0, s5
	s_mul_i32 s5, s2, 19
	s_mul_hi_u32 s2, s14, 19
	s_add_i32 s15, s2, s5
	s_load_dwordx2 s[2:3], s[6:7], 0x18
	v_mul_u32_u24_e32 v1, 0xd7a, v0
	s_mul_i32 s6, s14, 19
	v_lshrrev_b32_e32 v1, 16, v1
	s_waitcnt lgkmcnt(0)
	s_mul_i32 s3, s16, s6
	s_mul_i32 s4, s20, s4
	v_mul_lo_u16_e32 v2, 19, v1
	s_add_u32 s3, s4, s3
	s_mul_i32 s2, s2, s24
	v_sub_u16_e32 v2, v0, v2
	v_mov_b32_e32 v3, 0
	s_add_u32 s11, s2, s3
	v_mad_u64_u32 v[30:31], s[2:3], s14, 19, v[2:3]
	s_add_u32 s2, s6, 19
	s_addc_u32 s3, s15, 0
	v_mov_b64_e32 v[4:5], s[12:13]
	v_add_u32_e32 v31, s5, v31
	v_cmp_le_u64_e32 vcc, s[2:3], v[4:5]
	v_mad_u64_u32 v[114:115], s[2:3], s16, v2, 0
	v_cmp_gt_u64_e64 s[2:3], s[12:13], v[30:31]
	s_or_b64 s[6:7], vcc, s[2:3]
	v_mov_b32_e32 v4, 0
	v_mov_b32_e32 v5, 0
	s_and_saveexec_b64 s[4:5], s[6:7]
	s_cbranch_execz .LBB0_8
; %bb.7:
	v_mul_lo_u32 v4, s10, v1
	v_add3_u32 v4, s11, v114, v4
	v_mov_b32_e32 v5, v3
	v_lshl_add_u64 v[4:5], v[4:5], 3, s[8:9]
	global_load_dwordx2 v[4:5], v[4:5], off
.LBB0_8:
	s_or_b64 exec, exec, s[4:5]
	v_mov_b32_e32 v7, 0
	s_and_saveexec_b64 s[4:5], s[6:7]
	s_cbranch_execz .LBB0_10
; %bb.9:
	v_add_u32_e32 v3, 0x68, v1
	v_mul_lo_u32 v3, s10, v3
	v_add3_u32 v6, s11, v114, v3
	v_mov_b32_e32 v7, 0
	v_lshl_add_u64 v[6:7], v[6:7], 3, s[8:9]
	global_load_dwordx2 v[6:7], v[6:7], off
	s_waitcnt vmcnt(0)
	v_mov_b32_e32 v3, v6
.LBB0_10:
	s_or_b64 exec, exec, s[4:5]
	v_add_u32_e32 v140, 13, v1
	v_mov_b32_e32 v10, 0
	v_mov_b32_e32 v8, 0
	;; [unrolled: 1-line block ×3, first 2 shown]
	s_and_saveexec_b64 s[4:5], s[6:7]
	s_cbranch_execz .LBB0_12
; %bb.11:
	v_mul_lo_u32 v6, s10, v140
	v_add3_u32 v8, s11, v114, v6
	v_mov_b32_e32 v9, 0
	v_lshl_add_u64 v[8:9], v[8:9], 3, s[8:9]
	global_load_dwordx2 v[8:9], v[8:9], off
.LBB0_12:
	s_or_b64 exec, exec, s[4:5]
	v_mov_b32_e32 v11, 0
	s_and_saveexec_b64 s[4:5], s[6:7]
	s_cbranch_execz .LBB0_14
; %bb.13:
	v_add_u32_e32 v6, 0x75, v1
	v_mul_lo_u32 v6, s10, v6
	v_add3_u32 v10, s11, v114, v6
	v_mov_b32_e32 v11, 0
	v_lshl_add_u64 v[10:11], v[10:11], 3, s[8:9]
	global_load_dwordx2 v[10:11], v[10:11], off
.LBB0_14:
	s_or_b64 exec, exec, s[4:5]
	v_add_u32_e32 v31, 26, v1
	v_mov_b32_e32 v14, 0
	v_mov_b32_e32 v12, 0
	;; [unrolled: 1-line block ×3, first 2 shown]
	s_and_saveexec_b64 s[4:5], s[6:7]
	s_cbranch_execz .LBB0_16
; %bb.15:
	v_mul_lo_u32 v6, s10, v31
	v_add3_u32 v12, s11, v114, v6
	v_mov_b32_e32 v13, 0
	v_lshl_add_u64 v[12:13], v[12:13], 3, s[8:9]
	global_load_dwordx2 v[12:13], v[12:13], off
.LBB0_16:
	s_or_b64 exec, exec, s[4:5]
	v_mov_b32_e32 v15, 0
	s_and_saveexec_b64 s[4:5], s[6:7]
	s_cbranch_execz .LBB0_18
; %bb.17:
	v_add_u32_e32 v6, 0x82, v1
	v_mul_lo_u32 v6, s10, v6
	v_add3_u32 v14, s11, v114, v6
	v_mov_b32_e32 v15, 0
	v_lshl_add_u64 v[14:15], v[14:15], 3, s[8:9]
	global_load_dwordx2 v[14:15], v[14:15], off
.LBB0_18:
	s_or_b64 exec, exec, s[4:5]
	v_mov_b32_e32 v18, 0
	v_mov_b32_e32 v16, 0
	;; [unrolled: 1-line block ×3, first 2 shown]
	s_and_saveexec_b64 s[4:5], s[6:7]
	s_cbranch_execz .LBB0_20
; %bb.19:
	v_add_u32_e32 v6, 39, v1
	v_mul_lo_u32 v6, s10, v6
	v_add3_u32 v16, s11, v114, v6
	v_mov_b32_e32 v17, 0
	v_lshl_add_u64 v[16:17], v[16:17], 3, s[8:9]
	global_load_dwordx2 v[16:17], v[16:17], off
.LBB0_20:
	s_or_b64 exec, exec, s[4:5]
	v_mov_b32_e32 v19, 0
	s_and_saveexec_b64 s[4:5], s[6:7]
	s_cbranch_execz .LBB0_22
; %bb.21:
	v_add_u32_e32 v6, 0x8f, v1
	v_mul_lo_u32 v6, s10, v6
	v_add3_u32 v18, s11, v114, v6
	v_mov_b32_e32 v19, 0
	v_lshl_add_u64 v[18:19], v[18:19], 3, s[8:9]
	global_load_dwordx2 v[18:19], v[18:19], off
.LBB0_22:
	s_or_b64 exec, exec, s[4:5]
	v_add_u32_e32 v38, 52, v1
	v_mov_b32_e32 v22, 0
	v_mov_b32_e32 v20, 0
	;; [unrolled: 1-line block ×3, first 2 shown]
	s_and_saveexec_b64 s[4:5], s[6:7]
	s_cbranch_execz .LBB0_24
; %bb.23:
	v_mul_lo_u32 v6, s10, v38
	v_add3_u32 v20, s11, v114, v6
	v_mov_b32_e32 v21, 0
	v_lshl_add_u64 v[20:21], v[20:21], 3, s[8:9]
	global_load_dwordx2 v[20:21], v[20:21], off
.LBB0_24:
	s_or_b64 exec, exec, s[4:5]
	v_mov_b32_e32 v23, 0
	s_and_saveexec_b64 s[4:5], s[6:7]
	s_cbranch_execz .LBB0_26
; %bb.25:
	v_add_u32_e32 v6, 0x9c, v1
	v_mul_lo_u32 v6, s10, v6
	v_add3_u32 v22, s11, v114, v6
	v_mov_b32_e32 v23, 0
	v_lshl_add_u64 v[22:23], v[22:23], 3, s[8:9]
	global_load_dwordx2 v[22:23], v[22:23], off
.LBB0_26:
	s_or_b64 exec, exec, s[4:5]
	v_mov_b32_e32 v26, 0
	v_mov_b32_e32 v24, 0
	;; [unrolled: 1-line block ×3, first 2 shown]
	s_and_saveexec_b64 s[4:5], s[6:7]
	s_cbranch_execz .LBB0_28
; %bb.27:
	v_add_u32_e32 v6, 0x41, v1
	v_mul_lo_u32 v6, s10, v6
	v_add3_u32 v24, s11, v114, v6
	v_mov_b32_e32 v25, 0
	v_lshl_add_u64 v[24:25], v[24:25], 3, s[8:9]
	global_load_dwordx2 v[24:25], v[24:25], off
.LBB0_28:
	s_or_b64 exec, exec, s[4:5]
	v_mov_b32_e32 v27, 0
	s_and_saveexec_b64 s[4:5], s[6:7]
	s_cbranch_execz .LBB0_30
; %bb.29:
	v_add_u32_e32 v6, 0xa9, v1
	v_mul_lo_u32 v6, s10, v6
	v_add3_u32 v26, s11, v114, v6
	v_mov_b32_e32 v27, 0
	v_lshl_add_u64 v[26:27], v[26:27], 3, s[8:9]
	global_load_dwordx2 v[26:27], v[26:27], off
.LBB0_30:
	s_or_b64 exec, exec, s[4:5]
	v_add_u32_e32 v39, 0x4e, v1
	v_mov_b32_e32 v32, 0
	v_mov_b32_e32 v28, 0
	v_mov_b32_e32 v29, 0
	s_and_saveexec_b64 s[4:5], s[6:7]
	s_cbranch_execz .LBB0_32
; %bb.31:
	v_mul_lo_u32 v6, s10, v39
	v_add3_u32 v28, s11, v114, v6
	v_mov_b32_e32 v29, 0
	v_lshl_add_u64 v[28:29], v[28:29], 3, s[8:9]
	global_load_dwordx2 v[28:29], v[28:29], off
.LBB0_32:
	s_or_b64 exec, exec, s[4:5]
	v_mov_b32_e32 v33, 0
	s_and_saveexec_b64 s[4:5], s[6:7]
	s_cbranch_execz .LBB0_34
; %bb.33:
	v_add_u32_e32 v6, 0xb6, v1
	v_mul_lo_u32 v6, s10, v6
	v_add3_u32 v32, s11, v114, v6
	v_mov_b32_e32 v33, 0
	v_lshl_add_u64 v[32:33], v[32:33], 3, s[8:9]
	global_load_dwordx2 v[32:33], v[32:33], off
.LBB0_34:
	s_or_b64 exec, exec, s[4:5]
	s_load_dwordx2 s[12:13], s[0:1], 0x0
	v_mov_b32_e32 v36, 0
	v_mov_b32_e32 v34, 0
	;; [unrolled: 1-line block ×3, first 2 shown]
	s_and_saveexec_b64 s[4:5], s[6:7]
	s_cbranch_execz .LBB0_36
; %bb.35:
	v_add_u32_e32 v6, 0x5b, v1
	v_mul_lo_u32 v6, s10, v6
	v_add3_u32 v34, s11, v114, v6
	v_mov_b32_e32 v35, 0
	v_lshl_add_u64 v[34:35], v[34:35], 3, s[8:9]
	global_load_dwordx2 v[34:35], v[34:35], off
.LBB0_36:
	s_or_b64 exec, exec, s[4:5]
	v_mov_b32_e32 v37, 0
	s_and_saveexec_b64 s[4:5], s[6:7]
	s_cbranch_execz .LBB0_38
; %bb.37:
	v_add_u32_e32 v6, 0xc3, v1
	v_mul_lo_u32 v6, s10, v6
	v_add3_u32 v36, s11, v114, v6
	v_mov_b32_e32 v37, 0
	v_lshl_add_u64 v[36:37], v[36:37], 3, s[8:9]
	global_load_dwordx2 v[36:37], v[36:37], off
.LBB0_38:
	s_or_b64 exec, exec, s[4:5]
	v_mov_b32_e32 v6, v3
	s_waitcnt vmcnt(0)
	v_pk_add_f32 v[6:7], v[4:5], v[6:7] neg_lo:[0,1] neg_hi:[0,1]
	v_mul_u32_u24_e32 v3, 0x130, v1
	v_lshlrev_b32_e32 v68, 3, v2
	v_pk_add_f32 v[10:11], v[8:9], v[10:11] neg_lo:[0,1] neg_hi:[0,1]
	v_add3_u32 v40, 0, v3, v68
	v_pk_fma_f32 v[2:3], v[4:5], 2.0, v[6:7] op_sel_hi:[1,0,1] neg_lo:[0,0,1] neg_hi:[0,0,1]
	v_pk_add_f32 v[14:15], v[12:13], v[14:15] neg_lo:[0,1] neg_hi:[0,1]
	ds_write2_b64 v40, v[2:3], v[6:7] offset1:19
	v_pk_fma_f32 v[2:3], v[8:9], 2.0, v[10:11] op_sel_hi:[1,0,1] neg_lo:[0,0,1] neg_hi:[0,0,1]
	v_add_u32_e32 v4, 0xc00, v40
	v_pk_add_f32 v[18:19], v[16:17], v[18:19] neg_lo:[0,1] neg_hi:[0,1]
	ds_write2_b64 v4, v[2:3], v[10:11] offset0:110 offset1:129
	v_pk_fma_f32 v[2:3], v[12:13], 2.0, v[14:15] op_sel_hi:[1,0,1] neg_lo:[0,0,1] neg_hi:[0,0,1]
	v_add_u32_e32 v4, 0x1800, v40
	v_pk_add_f32 v[22:23], v[20:21], v[22:23] neg_lo:[0,1] neg_hi:[0,1]
	ds_write2_b64 v4, v[2:3], v[14:15] offset0:220 offset1:239
	;; [unrolled: 4-line block ×5, first 2 shown]
	v_pk_fma_f32 v[2:3], v[28:29], 2.0, v[32:33] op_sel_hi:[1,0,1] neg_lo:[0,0,1] neg_hi:[0,0,1]
	v_add_u32_e32 v4, 0x5800, v40
	ds_write2_b64 v4, v[2:3], v[32:33] offset0:148 offset1:167
	v_pk_fma_f32 v[2:3], v[34:35], 2.0, v[36:37] op_sel_hi:[1,0,1] neg_lo:[0,0,1] neg_hi:[0,0,1]
	v_add_u32_e32 v4, 0x6800, v40
	v_and_b32_e32 v69, 1, v140
	ds_write2_b64 v4, v[2:3], v[36:37] offset0:130 offset1:149
	v_mul_u32_u24_e32 v3, 7, v69
	v_lshlrev_b32_e32 v8, 3, v3
	s_waitcnt lgkmcnt(0)
	s_barrier
	v_and_b32_e32 v2, 1, v1
	global_load_dwordx4 v[10:13], v8, s[12:13]
	v_mul_u32_u24_e32 v2, 7, v2
	v_lshlrev_b32_e32 v66, 3, v2
	global_load_dwordx4 v[14:17], v66, s[12:13]
	global_load_dwordx4 v[18:21], v8, s[12:13] offset:16
	global_load_dwordx4 v[22:25], v66, s[12:13] offset:16
	;; [unrolled: 1-line block ×3, first 2 shown]
	global_load_dwordx2 v[6:7], v8, s[12:13] offset:48
	s_movk_i32 s4, 0xff68
	v_mul_i32_i24_e32 v9, 0xffffff68, v31
	s_movk_i32 s5, 0x1ee0
	v_mul_i32_i24_e32 v26, 0xffffff68, v38
	;; [unrolled: 2-line block ×3, first 2 shown]
	s_movk_i32 s15, 0x5ca0
	v_mad_i32_i24 v8, v1, s4, v40
	v_add3_u32 v9, v40, s5, v9
	v_add3_u32 v26, v40, s14, v26
	;; [unrolled: 1-line block ×3, first 2 shown]
	ds_read_b64 v[32:33], v9
	ds_read_b64 v[34:35], v26
	;; [unrolled: 1-line block ×3, first 2 shown]
	v_add_u32_e32 v9, 0x3600, v8
	ds_read_b64 v[38:39], v8 offset:5928
	ds_read_b64 v[40:41], v8 offset:9880
	;; [unrolled: 1-line block ×3, first 2 shown]
	ds_read_b64 v[44:45], v8
	ds_read2_b64 v[26:29], v9 offset0:1 offset1:248
	v_add_u32_e32 v9, 0x4540, v8
	s_mov_b32 s4, 0x3f3504f3
                                        ; implicit-def: $agpr2
                                        ; implicit-def: $agpr12
                                        ; implicit-def: $agpr14
                                        ; implicit-def: $agpr10
                                        ; implicit-def: $agpr16
                                        ; implicit-def: $agpr8
                                        ; implicit-def: $agpr18
                                        ; implicit-def: $agpr6
                                        ; implicit-def: $agpr20
                                        ; implicit-def: $agpr4
	s_waitcnt vmcnt(4) lgkmcnt(7)
	v_pk_mul_f32 v[52:53], v[14:15], v[32:33] op_sel:[0,1]
	v_mov_b32_e32 v48, v13
	s_waitcnt vmcnt(2)
	v_mov_b32_e32 v60, v25
	v_pk_fma_f32 v[62:63], v[14:15], v[32:33], v[52:53] op_sel:[0,0,1] op_sel_hi:[1,1,0]
	v_pk_fma_f32 v[32:33], v[14:15], v[32:33], v[52:53] op_sel:[0,0,1] op_sel_hi:[1,0,0] neg_lo:[1,0,0] neg_hi:[1,0,0]
	s_waitcnt lgkmcnt(3)
	v_pk_mul_f32 v[14:15], v[40:41], v[48:49] op_sel:[1,0] op_sel_hi:[0,1]
	v_pk_mul_f32 v[50:51], v[40:41], v[12:13] op_sel:[1,0] op_sel_hi:[0,1]
	v_pk_mul_f32 v[54:55], v[16:17], v[34:35] op_sel:[0,1]
	v_pk_fma_f32 v[40:41], v[40:41], v[12:13], v[14:15]
	s_waitcnt lgkmcnt(0)
	v_pk_mul_f32 v[12:13], v[28:29], v[60:61] op_sel_hi:[1,0]
	v_pk_fma_f32 v[52:53], v[16:17], v[34:35], v[54:55] op_sel:[0,0,1] op_sel_hi:[1,1,0]
	v_pk_fma_f32 v[16:17], v[16:17], v[34:35], v[54:55] op_sel:[0,0,1] op_sel_hi:[1,0,0] neg_lo:[1,0,0] neg_hi:[1,0,0]
	v_pk_fma_f32 v[48:49], v[28:29], v[24:25], v[12:13] op_sel:[0,0,1] op_sel_hi:[1,1,0]
	v_pk_fma_f32 v[54:55], v[28:29], v[24:25], v[12:13] op_sel:[0,0,1] op_sel_hi:[1,0,0] neg_lo:[0,0,1] neg_hi:[0,0,1]
	ds_read2_b64 v[12:15], v9 offset0:7 offset1:254
	v_pk_mul_f32 v[58:59], v[22:23], v[36:37] op_sel:[0,1]
	v_pk_mul_f32 v[46:47], v[38:39], v[10:11]
	v_pk_fma_f32 v[34:35], v[22:23], v[36:37], v[58:59] op_sel:[0,0,1] op_sel_hi:[1,1,0]
	v_pk_fma_f32 v[36:37], v[22:23], v[36:37], v[58:59] op_sel:[0,0,1] op_sel_hi:[1,0,0] neg_lo:[1,0,0] neg_hi:[1,0,0]
	v_mov_b32_e32 v60, v10
	v_mov_b32_e32 v10, v21
	global_load_dwordx4 v[22:25], v66, s[12:13] offset:32
	v_pk_mul_f32 v[56:57], v[26:27], v[18:19]
	v_mov_b32_e32 v61, v18
	v_mov_b32_e32 v18, v11
	s_waitcnt lgkmcnt(0)
	v_pk_mul_f32 v[10:11], v[12:13], v[10:11] op_sel:[1,0] op_sel_hi:[0,1]
	v_pk_fma_f32 v[64:65], v[12:13], v[20:21], v[10:11]
	v_pk_mul_f32 v[10:11], v[12:13], v[20:21] op_sel:[1,0] op_sel_hi:[0,1]
	v_mov_b32_e32 v58, v39
	v_mov_b32_e32 v39, v26
	;; [unrolled: 1-line block ×3, first 2 shown]
	v_add_u32_e32 v10, 0x6440, v8
	v_mov_b32_e32 v59, v27
	ds_read2_b64 v[26:29], v10 offset0:3 offset1:250
	v_pk_mul_f32 v[10:11], v[38:39], v[18:19]
	v_pk_fma_f32 v[20:21], v[12:13], v[20:21], v[8:9] op_sel:[1,0,0] op_sel_hi:[0,1,1] neg_lo:[1,0,0] neg_hi:[1,0,0]
	v_pk_fma_f32 v[18:19], v[58:59], v[60:61], v[10:11] neg_lo:[0,0,1] neg_hi:[0,0,1]
	global_load_dwordx2 v[58:59], v66, s[12:13] offset:48
	s_waitcnt vmcnt(3)
	v_mov_b32_e32 v10, v5
	s_waitcnt lgkmcnt(0)
	v_pk_mul_f32 v[10:11], v[26:27], v[10:11] op_sel:[1,0] op_sel_hi:[0,1]
	v_add_u32_e32 v9, 0x54c0, v8
	v_pk_fma_f32 v[38:39], v[26:27], v[4:5], v[10:11]
	ds_read2_b64 v[10:13], v9 offset0:5 offset1:252
	v_pk_mul_f32 v[4:5], v[26:27], v[4:5] op_sel:[1,0] op_sel_hi:[0,1]
	v_mov_b32_e32 v26, v50
	v_mov_b32_e32 v27, v4
	;; [unrolled: 1-line block ×4, first 2 shown]
	s_waitcnt vmcnt(2)
	v_mov_b32_e32 v61, v6
	v_pk_mul_f32 v[66:67], v[42:43], v[6:7]
	v_mov_b32_e32 v6, v3
	s_waitcnt lgkmcnt(0)
	v_pk_mul_f32 v[2:3], v[10:11], v[2:3]
	v_pk_add_f32 v[4:5], v[26:27], v[4:5] neg_lo:[0,1] neg_hi:[0,1]
	v_mov_b32_e32 v26, v56
	v_mov_b32_e32 v27, v46
	;; [unrolled: 1-line block ×3, first 2 shown]
	v_pk_add_f32 v[26:27], v[26:27], v[46:47]
	v_mov_b32_e32 v46, v66
	v_mov_b32_e32 v47, v2
	;; [unrolled: 1-line block ×3, first 2 shown]
	v_pk_add_f32 v[2:3], v[46:47], v[2:3]
	v_mov_b32_e32 v46, v11
	v_mov_b32_e32 v11, v42
	;; [unrolled: 1-line block ×3, first 2 shown]
	v_pk_mul_f32 v[6:7], v[10:11], v[6:7]
	v_pk_add_f32 v[10:11], v[26:27], v[2:3] neg_lo:[0,1] neg_hi:[0,1]
	v_pk_fma_f32 v[6:7], v[46:47], v[60:61], v[6:7] neg_lo:[0,0,1] neg_hi:[0,0,1]
	v_mov_b32_e32 v41, v4
	v_pk_add_f32 v[2:3], v[18:19], v[6:7] neg_lo:[0,1] neg_hi:[0,1]
	v_mov_b32_e32 v39, v5
	v_mov_b32_e32 v4, v27
	;; [unrolled: 1-line block ×5, first 2 shown]
	v_pk_fma_f32 v[4:5], v[4:5], 2.0, v[6:7] op_sel_hi:[1,0,1] neg_lo:[0,0,1] neg_hi:[0,0,1]
	v_pk_add_f32 v[6:7], v[2:3], v[10:11] neg_lo:[0,1] neg_hi:[0,1]
	v_mov_b32_e32 v27, v19
	v_pk_add_f32 v[18:19], v[2:3], v[10:11]
	v_mov_b32_e32 v65, v21
	v_mov_b32_e32 v7, v19
	v_fma_f32 v19, v11, 2.0, -v19
	v_fma_f32 v18, v2, 2.0, -v6
	v_mov_b32_e32 v11, v3
	v_add_u32_e32 v2, 0xffffd968, v31
	v_pk_fma_f32 v[10:11], v[26:27], 2.0, v[10:11] op_sel_hi:[1,0,1] neg_lo:[0,0,1] neg_hi:[0,0,1]
	ds_read_b64 v[26:27], v2
	v_mov_b32_e32 v63, v33
	v_pk_add_f32 v[38:39], v[40:41], v[38:39] neg_lo:[0,1] neg_hi:[0,1]
	v_pk_add_f32 v[10:11], v[4:5], v[10:11] neg_lo:[0,1] neg_hi:[0,1]
	v_pk_fma_f32 v[40:41], v[40:41], 2.0, v[38:39] op_sel_hi:[1,0,1] neg_lo:[0,0,1] neg_hi:[0,0,1]
	s_waitcnt lgkmcnt(0)
	v_pk_add_f32 v[32:33], v[26:27], v[64:65] neg_lo:[0,1] neg_hi:[0,1]
	v_pk_fma_f32 v[4:5], v[4:5], 2.0, v[10:11] op_sel_hi:[1,0,1] neg_lo:[0,0,1] neg_hi:[0,0,1]
	v_pk_fma_f32 v[26:27], v[26:27], 2.0, v[32:33] op_sel_hi:[1,0,1] neg_lo:[0,0,1] neg_hi:[0,0,1]
	v_mov_b32_e32 v53, v17
	v_pk_add_f32 v[40:41], v[26:27], v[40:41] neg_lo:[0,1] neg_hi:[0,1]
	v_mov_b32_e32 v49, v55
	v_pk_fma_f32 v[26:27], v[26:27], 2.0, v[40:41] op_sel_hi:[1,0,1] neg_lo:[0,0,1] neg_hi:[0,0,1]
	v_mov_b32_e32 v35, v37
	v_pk_add_f32 v[4:5], v[26:27], v[4:5] neg_lo:[0,1] neg_hi:[0,1]
	v_pk_mul_f32 v[20:21], v[6:7], s[4:5] op_sel_hi:[1,0]
	v_pk_fma_f32 v[42:43], v[26:27], 2.0, v[4:5] op_sel_hi:[1,0,1] neg_lo:[0,0,1] neg_hi:[0,0,1]
	s_waitcnt vmcnt(1)
	v_pk_mul_f32 v[16:17], v[14:15], v[22:23] op_sel:[0,1]
	v_lshlrev_b32_e32 v3, 3, v140
	v_pk_fma_f32 v[26:27], v[14:15], v[22:23], v[16:17] op_sel:[0,0,1] op_sel_hi:[1,1,0]
	v_pk_fma_f32 v[14:15], v[14:15], v[22:23], v[16:17] op_sel:[0,0,1] op_sel_hi:[1,0,0] neg_lo:[0,0,1] neg_hi:[0,0,1]
	s_movk_i32 s5, 0xf0
	v_mov_b32_e32 v14, v25
	v_mov_b32_e32 v27, v15
	v_pk_mul_f32 v[14:15], v[12:13], v[14:15] op_sel_hi:[1,0]
	v_pk_add_f32 v[26:27], v[62:63], v[26:27] neg_lo:[0,1] neg_hi:[0,1]
	v_pk_fma_f32 v[16:17], v[12:13], v[24:25], v[14:15] op_sel:[0,0,1] op_sel_hi:[1,1,0]
	v_pk_fma_f32 v[12:13], v[12:13], v[24:25], v[14:15] op_sel:[0,0,1] op_sel_hi:[1,0,0] neg_lo:[0,0,1] neg_hi:[0,0,1]
	v_and_or_b32 v3, v3, s5, v69
	v_mov_b32_e32 v17, v13
	v_pk_add_f32 v[16:17], v[52:53], v[16:17] neg_lo:[0,1] neg_hi:[0,1]
	s_movk_i32 s5, 0x71
	v_pk_fma_f32 v[24:25], v[52:53], 2.0, v[16:17] op_sel_hi:[1,0,1] neg_lo:[0,0,1] neg_hi:[0,0,1]
	s_waitcnt vmcnt(0)
	v_pk_mul_f32 v[12:13], v[28:29], v[58:59] op_sel:[0,1]
	v_lshlrev_b32_e32 v9, 3, v1
	v_pk_fma_f32 v[14:15], v[28:29], v[58:59], v[12:13] op_sel:[0,0,1] op_sel_hi:[1,1,0]
	v_pk_fma_f32 v[12:13], v[28:29], v[58:59], v[12:13] op_sel:[0,0,1] op_sel_hi:[1,0,0] neg_lo:[0,0,1] neg_hi:[0,0,1]
	v_pk_fma_f32 v[28:29], v[62:63], 2.0, v[26:27] op_sel_hi:[1,0,1] neg_lo:[0,0,1] neg_hi:[0,0,1]
	v_mov_b32_e32 v15, v13
	v_pk_add_f32 v[12:13], v[44:45], v[48:49] neg_lo:[0,1] neg_hi:[0,1]
	v_pk_add_f32 v[14:15], v[34:35], v[14:15] neg_lo:[0,1] neg_hi:[0,1]
	v_pk_add_f32 v[36:37], v[12:13], v[16:17] op_sel:[0,1] op_sel_hi:[1,0]
	v_pk_add_f32 v[16:17], v[12:13], v[16:17] op_sel:[0,1] op_sel_hi:[1,0] neg_lo:[0,1] neg_hi:[0,1]
	v_pk_fma_f32 v[34:35], v[34:35], 2.0, v[14:15] op_sel_hi:[1,0,1] neg_lo:[0,0,1] neg_hi:[0,0,1]
	v_mov_b32_e32 v37, v17
	v_pk_add_f32 v[16:17], v[26:27], v[14:15] op_sel:[0,1] op_sel_hi:[1,0]
	v_pk_add_f32 v[14:15], v[26:27], v[14:15] op_sel:[0,1] op_sel_hi:[1,0] neg_lo:[0,1] neg_hi:[0,1]
	v_pk_fma_f32 v[22:23], v[44:45], 2.0, v[12:13] op_sel_hi:[1,0,1] neg_lo:[0,0,1] neg_hi:[0,0,1]
	v_mov_b32_e32 v17, v15
	v_pk_fma_f32 v[12:13], v[12:13], 2.0, v[36:37] op_sel_hi:[1,0,1] neg_lo:[0,0,1] neg_hi:[0,0,1]
	v_pk_fma_f32 v[14:15], v[26:27], 2.0, v[16:17] op_sel_hi:[1,0,1] neg_lo:[0,0,1] neg_hi:[0,0,1]
	v_pk_add_f32 v[24:25], v[22:23], v[24:25] neg_lo:[0,1] neg_hi:[0,1]
	v_pk_add_f32 v[34:35], v[28:29], v[34:35] neg_lo:[0,1] neg_hi:[0,1]
	v_pk_mul_f32 v[26:27], v[14:15], s[4:5] op_sel_hi:[1,0]
	v_pk_fma_f32 v[14:15], v[14:15], s[4:5], v[12:13] op_sel_hi:[1,0,1] neg_lo:[1,0,0] neg_hi:[1,0,0]
	v_bitop3_b32 v9, v9, s5, v1 bitop3:0xc8
	v_pk_fma_f32 v[22:23], v[22:23], 2.0, v[24:25] op_sel_hi:[1,0,1] neg_lo:[0,0,1] neg_hi:[0,0,1]
	v_pk_fma_f32 v[28:29], v[28:29], 2.0, v[34:35] op_sel_hi:[1,0,1] neg_lo:[0,0,1] neg_hi:[0,0,1]
	v_pk_add_f32 v[44:45], v[14:15], v[26:27] op_sel:[0,1] op_sel_hi:[1,0]
	v_pk_add_f32 v[14:15], v[14:15], v[26:27] op_sel:[0,1] op_sel_hi:[1,0] neg_lo:[0,1] neg_hi:[0,1]
	v_mul_u32_u24_e32 v9, 0x98, v9
	v_pk_add_f32 v[28:29], v[22:23], v[28:29] neg_lo:[0,1] neg_hi:[0,1]
	v_mov_b32_e32 v45, v15
	v_add3_u32 v9, 0, v9, v68
	v_pk_fma_f32 v[22:23], v[22:23], 2.0, v[28:29] op_sel_hi:[1,0,1] neg_lo:[0,0,1] neg_hi:[0,0,1]
	v_pk_fma_f32 v[12:13], v[12:13], 2.0, v[44:45] op_sel_hi:[1,0,1] neg_lo:[0,0,1] neg_hi:[0,0,1]
	s_barrier
	ds_write2_b64 v9, v[22:23], v[12:13] offset1:38
	v_pk_add_f32 v[12:13], v[24:25], v[34:35] op_sel:[0,1] op_sel_hi:[1,0]
	v_pk_add_f32 v[14:15], v[24:25], v[34:35] op_sel:[0,1] op_sel_hi:[1,0] neg_lo:[0,1] neg_hi:[0,1]
	v_pk_mul_f32 v[22:23], v[16:17], s[4:5] op_sel_hi:[1,0]
	v_mov_b32_e32 v13, v15
	v_pk_fma_f32 v[16:17], v[16:17], s[4:5], v[36:37] op_sel_hi:[1,0,1]
	v_pk_fma_f32 v[14:15], v[24:25], 2.0, v[12:13] op_sel_hi:[1,0,1] neg_lo:[0,0,1] neg_hi:[0,0,1]
	v_pk_add_f32 v[24:25], v[16:17], v[22:23] op_sel:[0,1] op_sel_hi:[1,0]
	v_pk_add_f32 v[16:17], v[16:17], v[22:23] op_sel:[0,1] op_sel_hi:[1,0] neg_lo:[0,1] neg_hi:[0,1]
	v_mul_u32_u24_e32 v3, 0x98, v3
	v_mov_b32_e32 v25, v17
	v_pk_fma_f32 v[16:17], v[36:37], 2.0, v[24:25] op_sel_hi:[1,0,1] neg_lo:[0,0,1] neg_hi:[0,0,1]
	ds_write2_b64 v9, v[14:15], v[16:17] offset0:76 offset1:114
	ds_write2_b64 v9, v[28:29], v[44:45] offset0:152 offset1:190
	v_add_u32_e32 v9, 0x400, v9
	ds_write2_b64 v9, v[12:13], v[24:25] offset0:100 offset1:138
	v_pk_add_f32 v[12:13], v[32:33], v[38:39] op_sel:[0,1] op_sel_hi:[1,0]
	v_pk_add_f32 v[14:15], v[32:33], v[38:39] op_sel:[0,1] op_sel_hi:[1,0] neg_lo:[0,1] neg_hi:[0,1]
	v_add3_u32 v3, 0, v3, v68
	v_mov_b32_e32 v13, v15
	v_pk_fma_f32 v[14:15], v[32:33], 2.0, v[12:13] op_sel_hi:[1,0,1] neg_lo:[0,0,1] neg_hi:[0,0,1]
	v_pk_add_f32 v[52:53], v[40:41], v[10:11] op_sel:[0,1] op_sel_hi:[1,0]
	v_pk_fma_f32 v[16:17], v[18:19], s[4:5], v[14:15] op_sel:[0,0,1] op_sel_hi:[1,0,0] neg_lo:[1,0,0] neg_hi:[1,0,0]
	v_pk_add_f32 v[34:35], v[40:41], v[10:11] op_sel:[0,1] op_sel_hi:[1,0] neg_lo:[0,1] neg_hi:[0,1]
	v_pk_fma_f32 v[26:27], v[18:19], s[4:5], v[16:17] op_sel:[0,0,1] op_sel_hi:[1,0,0]
	v_pk_fma_f32 v[28:29], v[18:19], s[4:5], v[16:17] op_sel:[0,0,1] op_sel_hi:[1,0,0] neg_lo:[1,0,0] neg_hi:[1,0,0]
	v_mov_b32_e32 v53, v35
	v_mov_b32_e32 v27, v29
	v_pk_fma_f32 v[14:15], v[14:15], 2.0, v[26:27] op_sel_hi:[1,0,1] neg_lo:[0,0,1] neg_hi:[0,0,1]
	ds_write2_b64 v3, v[42:43], v[14:15] offset1:38
	v_pk_add_f32 v[14:15], v[12:13], v[20:21] op_sel:[0,1] op_sel_hi:[1,0]
	v_pk_fma_f32 v[10:11], v[40:41], 2.0, v[52:53] op_sel_hi:[1,0,1] neg_lo:[0,0,1] neg_hi:[0,0,1]
	v_pk_fma_f32 v[54:55], v[6:7], s[4:5], v[14:15] op_sel_hi:[1,0,1]
	v_pk_fma_f32 v[40:41], v[6:7], s[4:5], v[14:15] op_sel_hi:[1,0,1] neg_lo:[1,0,0] neg_hi:[1,0,0]
	v_cmp_gt_u32_e64 s[4:5], 57, v0
	v_mov_b32_e32 v55, v41
	v_pk_fma_f32 v[6:7], v[12:13], 2.0, v[54:55] op_sel_hi:[1,0,1] neg_lo:[0,0,1] neg_hi:[0,0,1]
	ds_write2_b64 v3, v[10:11], v[6:7] offset0:76 offset1:114
	ds_write2_b64 v3, v[4:5], v[26:27] offset0:152 offset1:190
	v_add_u32_e32 v3, 0x400, v3
	ds_write2_b64 v3, v[52:53], v[54:55] offset0:100 offset1:138
	s_waitcnt lgkmcnt(0)
	s_barrier
	ds_read_b64 v[112:113], v8
	ds_read_b64 v[116:117], v8 offset:2432
	ds_read_b64 v[120:121], v8 offset:4864
	;; [unrolled: 1-line block ×12, first 2 shown]
	s_and_saveexec_b64 s[14:15], s[4:5]
	s_cbranch_execz .LBB0_40
; %bb.39:
	ds_read_b64 v[26:27], v2
	ds_read_b64 v[34:35], v8 offset:4408
	ds_read_b64 v[40:41], v8 offset:6840
	ds_read_b64 a[20:21], v8 offset:9272
	ds_read_b64 a[18:19], v8 offset:11704
	ds_read_b64 a[16:17], v8 offset:14136
	ds_read_b64 a[14:15], v8 offset:16568
	ds_read_b64 a[12:13], v8 offset:19000
	ds_read_b64 a[10:11], v8 offset:21432
	ds_read_b64 a[8:9], v8 offset:23864
	ds_read_b64 a[6:7], v8 offset:26296
	ds_read_b64 a[4:5], v8 offset:28728
	ds_read_b64 a[2:3], v8 offset:31160
	s_waitcnt lgkmcnt(11)
	v_mov_b32_e32 v52, v34
	s_waitcnt lgkmcnt(10)
	v_mov_b32_e32 v54, v40
	v_mov_b32_e32 v29, v27
.LBB0_40:
	s_or_b64 exec, exec, s[14:15]
	s_load_dwordx2 s[4:5], s[0:1], 0x8
	v_and_b32_e32 v2, 15, v140
	v_mul_u32_u24_e32 v3, 12, v2
	v_lshlrev_b32_e32 v6, 3, v3
	v_mul_lo_u32 v3, v30, v2
	v_mov_b32_e32 v31, 3
	v_or_b32_e32 v5, 16, v2
	v_lshlrev_b32_sdwa v4, v31, v3 dst_sel:DWORD dst_unused:UNUSED_PAD src0_sel:DWORD src1_sel:BYTE_0
	v_lshlrev_b32_sdwa v3, v31, v3 dst_sel:DWORD dst_unused:UNUSED_PAD src0_sel:DWORD src1_sel:BYTE_1
	v_mul_lo_u32 v5, v30, v5
	v_lshlrev_b32_sdwa v7, v31, v5 dst_sel:DWORD dst_unused:UNUSED_PAD src0_sel:DWORD src1_sel:BYTE_0
	v_lshlrev_b32_sdwa v5, v31, v5 dst_sel:DWORD dst_unused:UNUSED_PAD src0_sel:DWORD src1_sel:BYTE_1
	s_waitcnt lgkmcnt(0)
	global_load_dwordx2 v[68:69], v4, s[4:5]
	global_load_dwordx2 v[70:71], v3, s[4:5] offset:2048
	global_load_dwordx2 v[60:61], v7, s[4:5]
	global_load_dwordx2 v[62:63], v5, s[4:5] offset:2048
	v_or_b32_e32 v3, 32, v2
	v_mul_lo_u32 v3, v30, v3
	v_or_b32_e32 v5, 48, v2
	v_lshlrev_b32_sdwa v4, v31, v3 dst_sel:DWORD dst_unused:UNUSED_PAD src0_sel:DWORD src1_sel:BYTE_0
	v_lshlrev_b32_sdwa v3, v31, v3 dst_sel:DWORD dst_unused:UNUSED_PAD src0_sel:DWORD src1_sel:BYTE_1
	v_mul_lo_u32 v5, v30, v5
	v_lshlrev_b32_sdwa v7, v31, v5 dst_sel:DWORD dst_unused:UNUSED_PAD src0_sel:DWORD src1_sel:BYTE_0
	v_lshlrev_b32_sdwa v5, v31, v5 dst_sel:DWORD dst_unused:UNUSED_PAD src0_sel:DWORD src1_sel:BYTE_1
	global_load_dwordx2 v[72:73], v4, s[4:5]
	global_load_dwordx2 v[74:75], v3, s[4:5] offset:2048
	global_load_dwordx2 v[64:65], v7, s[4:5]
	global_load_dwordx2 v[66:67], v5, s[4:5] offset:2048
	v_or_b32_e32 v3, 64, v2
	v_mul_lo_u32 v3, v30, v3
	v_or_b32_e32 v5, 0x50, v2
	v_lshlrev_b32_sdwa v4, v31, v3 dst_sel:DWORD dst_unused:UNUSED_PAD src0_sel:DWORD src1_sel:BYTE_0
	v_lshlrev_b32_sdwa v3, v31, v3 dst_sel:DWORD dst_unused:UNUSED_PAD src0_sel:DWORD src1_sel:BYTE_1
	v_mul_lo_u32 v5, v30, v5
	v_lshlrev_b32_sdwa v7, v31, v5 dst_sel:DWORD dst_unused:UNUSED_PAD src0_sel:DWORD src1_sel:BYTE_0
	v_lshlrev_b32_sdwa v5, v31, v5 dst_sel:DWORD dst_unused:UNUSED_PAD src0_sel:DWORD src1_sel:BYTE_1
	;; [unrolled: 12-line block ×4, first 2 shown]
	global_load_dwordx2 v[96:97], v4, s[4:5]
	global_load_dwordx2 v[98:99], v3, s[4:5] offset:2048
	global_load_dwordx2 v[92:93], v7, s[4:5]
	global_load_dwordx2 v[94:95], v5, s[4:5] offset:2048
	v_or_b32_e32 v3, 0xa0, v2
	v_mul_lo_u32 v3, v30, v3
	v_or_b32_e32 v5, 0xb0, v2
	v_or_b32_e32 v2, 0xc0, v2
	v_lshlrev_b32_sdwa v4, v31, v3 dst_sel:DWORD dst_unused:UNUSED_PAD src0_sel:DWORD src1_sel:BYTE_0
	v_lshlrev_b32_sdwa v3, v31, v3 dst_sel:DWORD dst_unused:UNUSED_PAD src0_sel:DWORD src1_sel:BYTE_1
	v_mul_lo_u32 v5, v30, v5
	v_mul_lo_u32 v2, v30, v2
	v_lshlrev_b32_sdwa v7, v31, v5 dst_sel:DWORD dst_unused:UNUSED_PAD src0_sel:DWORD src1_sel:BYTE_0
	v_lshlrev_b32_sdwa v5, v31, v5 dst_sel:DWORD dst_unused:UNUSED_PAD src0_sel:DWORD src1_sel:BYTE_1
	global_load_dwordx2 v[104:105], v4, s[4:5]
	global_load_dwordx2 v[108:109], v3, s[4:5] offset:2048
	global_load_dwordx2 v[100:101], v7, s[4:5]
	global_load_dwordx2 v[102:103], v5, s[4:5] offset:2048
	v_lshlrev_b32_sdwa v3, v31, v2 dst_sel:DWORD dst_unused:UNUSED_PAD src0_sel:DWORD src1_sel:BYTE_0
	v_lshlrev_b32_sdwa v2, v31, v2 dst_sel:DWORD dst_unused:UNUSED_PAD src0_sel:DWORD src1_sel:BYTE_1
	global_load_dwordx2 v[106:107], v3, s[4:5]
	global_load_dwordx2 v[110:111], v2, s[4:5] offset:2048
	global_load_dwordx4 v[10:13], v6, s[12:13] offset:160
	global_load_dwordx4 v[14:17], v6, s[12:13] offset:144
	;; [unrolled: 1-line block ×3, first 2 shown]
                                        ; kill: killed $vgpr3
                                        ; kill: killed $vgpr2
	global_load_dwordx4 v[22:25], v6, s[12:13] offset:112
	s_nop 0
	global_load_dwordx4 v[2:5], v6, s[12:13] offset:192
	s_nop 0
	global_load_dwordx4 v[6:9], v6, s[12:13] offset:176
	v_add_u32_e32 v28, s11, v114
	s_and_saveexec_b64 s[0:1], s[6:7]
	s_cbranch_execz .LBB0_42
; %bb.41:
	v_mul_u32_u24_e32 v27, 12, v1
	v_lshlrev_b32_e32 v27, 3, v27
	v_accvgpr_write_b32 a0, v140
	global_load_dwordx4 v[140:143], v27, s[12:13] offset:144
	global_load_dwordx4 v[144:147], v27, s[12:13] offset:160
	;; [unrolled: 1-line block ×6, first 2 shown]
	v_mov_b32_e32 v152, v137
	v_mov_b32_e32 v153, v136
	;; [unrolled: 1-line block ×14, first 2 shown]
	v_or_b32_e32 v27, 0xc0, v1
	v_mul_lo_u32 v32, v30, v27
	v_mov_b32_e32 v186, v117
	v_mov_b32_e32 v187, v116
	v_lshlrev_b32_sdwa v33, v31, v32 dst_sel:DWORD dst_unused:UNUSED_PAD src0_sel:DWORD src1_sel:BYTE_0
	v_lshlrev_b32_sdwa v32, v31, v32 dst_sel:DWORD dst_unused:UNUSED_PAD src0_sel:DWORD src1_sel:BYTE_1
	v_or_b32_e32 v53, 0x90, v1
	v_or_b32_e32 v55, 0x80, v1
	;; [unrolled: 1-line block ×9, first 2 shown]
	s_mov_b32 s22, 0x3f116cb1
	s_mov_b32 s7, 0xbeedf032
	;; [unrolled: 1-line block ×33, first 2 shown]
	s_waitcnt vmcnt(5)
	v_pk_mul_f32 v[170:171], v[140:141], v[154:155]
	s_waitcnt vmcnt(4)
	v_pk_mul_f32 v[150:151], v[144:145], v[152:153]
	v_pk_mul_f32 v[174:175], v[146:147], v[156:157]
	s_waitcnt vmcnt(3)
	v_pk_mul_f32 v[178:179], v[160:161], v[172:173]
	s_waitcnt vmcnt(2)
	v_pk_mul_f32 v[188:189], v[130:131], v[162:163] op_sel:[1,0] op_sel_hi:[0,1]
	v_pk_mul_f32 v[192:193], v[126:127], v[164:165] op_sel:[1,0] op_sel_hi:[0,1]
	v_mov_b32_e32 v34, v143
	v_pk_mul_f32 v[148:149], v[142:143], v[114:115]
	v_mov_b32_e32 v150, v147
	v_mov_b32_e32 v170, v161
	;; [unrolled: 1-line block ×4, first 2 shown]
	v_pk_mul_f32 v[190:191], v[158:159], v[176:177]
	v_mov_b32_e32 v188, v165
	s_waitcnt vmcnt(1)
	v_pk_mul_f32 v[194:195], v[168:169], v[184:185]
	s_waitcnt vmcnt(0)
	v_mov_b32_e32 v192, v181
	v_pk_mul_f32 v[196:197], v[124:125], v[180:181] op_sel:[1,0] op_sel_hi:[0,1]
	v_mov_b32_e32 v40, v145
	v_mov_b32_e32 v148, v141
	;; [unrolled: 1-line block ×3, first 2 shown]
	v_pk_mul_f32 v[198:199], v[34:35], v[114:115]
	v_mov_b32_e32 v34, v149
	v_mov_b32_e32 v196, v171
	v_pk_mul_f32 v[204:205], v[150:151], v[156:157]
	v_mov_b32_e32 v206, v175
	v_pk_mul_f32 v[208:209], v[170:171], v[172:173]
	v_mov_b32_e32 v218, v179
	v_pk_mul_f32 v[222:223], v[130:131], v[174:175] op_sel:[1,0] op_sel_hi:[0,1]
	v_mov_b32_e32 v224, v189
	v_pk_mul_f32 v[178:179], v[178:179], v[176:177]
	v_mov_b32_e32 v226, v191
	v_pk_mul_f32 v[188:189], v[126:127], v[188:189] op_sel:[1,0] op_sel_hi:[0,1]
	v_mov_b32_e32 v228, v193
	v_pk_mul_f32 v[192:193], v[124:125], v[192:193] op_sel:[1,0] op_sel_hi:[0,1]
	v_mov_b32_e32 v232, v197
	v_pk_mul_f32 v[200:201], v[40:41], v[152:153]
	v_pk_mul_f32 v[202:203], v[148:149], v[154:155]
	v_pk_fma_f32 v[210:211], v[142:143], v[114:115], v[34:35] neg_lo:[0,0,1] neg_hi:[0,0,1]
	v_pk_fma_f32 v[216:217], v[140:141], v[154:155], v[196:197] neg_lo:[0,0,1] neg_hi:[0,0,1]
	v_pk_fma_f32 v[154:155], v[146:147], v[134:135], v[204:205] op_sel_hi:[1,0,1]
	v_pk_fma_f32 v[212:213], v[146:147], v[156:157], v[206:207] neg_lo:[0,0,1] neg_hi:[0,0,1]
	v_pk_fma_f32 v[174:175], v[160:161], v[128:129], v[208:209] op_sel_hi:[1,0,1]
	v_pk_fma_f32 v[156:157], v[130:131], v[162:163], v[222:223]
	v_pk_fma_f32 v[208:209], v[130:131], v[162:163], v[224:225] op_sel:[1,0,0] op_sel_hi:[0,1,1] neg_lo:[0,0,1] neg_hi:[0,0,1]
	v_pk_fma_f32 v[178:179], v[158:159], v[122:123], v[178:179] op_sel_hi:[1,0,1]
	v_pk_fma_f32 v[222:223], v[158:159], v[176:177], v[226:227] neg_lo:[0,0,1] neg_hi:[0,0,1]
	v_pk_fma_f32 v[158:159], v[126:127], v[164:165], v[188:189]
	v_pk_fma_f32 v[206:207], v[126:127], v[164:165], v[228:229] op_sel:[1,0,0] op_sel_hi:[0,1,1] neg_lo:[0,0,1] neg_hi:[0,0,1]
	v_pk_fma_f32 v[162:163], v[124:125], v[180:181], v[192:193]
	v_pk_fma_f32 v[204:205], v[124:125], v[180:181], v[232:233] op_sel:[1,0,0] op_sel_hi:[0,1,1] neg_lo:[0,0,1] neg_hi:[0,0,1]
	v_pk_mul_f32 v[114:115], v[194:195], v[186:187]
	v_mov_b32_e32 v34, v183
	global_load_dwordx2 v[124:125], v33, s[4:5]
	global_load_dwordx2 v[126:127], v32, s[4:5] offset:2048
	v_mov_b32_e32 v40, v151
	v_pk_fma_f32 v[150:151], v[144:145], v[136:137], v[200:201] op_sel_hi:[1,0,1]
	v_pk_fma_f32 v[200:201], v[166:167], v[116:117], v[114:115] op_sel_hi:[1,0,1]
	v_pk_mul_f32 v[116:117], v[118:119], v[34:35] op_sel:[1,0] op_sel_hi:[0,1]
	v_or_b32_e32 v34, 0xb0, v1
	v_mul_lo_u32 v32, v30, v34
	v_lshlrev_b32_sdwa v33, v31, v32 dst_sel:DWORD dst_unused:UNUSED_PAD src0_sel:DWORD src1_sel:BYTE_0
	v_lshlrev_b32_sdwa v32, v31, v32 dst_sel:DWORD dst_unused:UNUSED_PAD src0_sel:DWORD src1_sel:BYTE_1
	global_load_dwordx2 v[128:129], v33, s[4:5]
	global_load_dwordx2 v[130:131], v32, s[4:5] offset:2048
	v_pk_fma_f32 v[214:215], v[144:145], v[152:153], v[40:41] neg_lo:[0,0,1] neg_hi:[0,0,1]
	v_or_b32_e32 v40, 0xa0, v1
	v_mul_lo_u32 v32, v30, v40
	v_lshlrev_b32_sdwa v33, v31, v32 dst_sel:DWORD dst_unused:UNUSED_PAD src0_sel:DWORD src1_sel:BYTE_0
	v_pk_fma_f32 v[170:171], v[140:141], v[132:133], v[202:203] op_sel_hi:[1,0,1]
	v_lshlrev_b32_sdwa v32, v31, v32 dst_sel:DWORD dst_unused:UNUSED_PAD src0_sel:DWORD src1_sel:BYTE_1
	global_load_dwordx2 v[132:133], v33, s[4:5]
	global_load_dwordx2 v[134:135], v32, s[4:5] offset:2048
	v_mul_lo_u32 v32, v30, v53
	v_lshlrev_b32_sdwa v33, v31, v32 dst_sel:DWORD dst_unused:UNUSED_PAD src0_sel:DWORD src1_sel:BYTE_0
	v_pk_fma_f32 v[148:149], v[142:143], v[138:139], v[198:199] op_sel_hi:[1,0,1]
	v_lshlrev_b32_sdwa v32, v31, v32 dst_sel:DWORD dst_unused:UNUSED_PAD src0_sel:DWORD src1_sel:BYTE_1
	global_load_dwordx2 v[136:137], v33, s[4:5]
	global_load_dwordx2 v[138:139], v32, s[4:5] offset:2048
	v_mul_lo_u32 v32, v30, v55
	v_lshlrev_b32_sdwa v33, v31, v32 dst_sel:DWORD dst_unused:UNUSED_PAD src0_sel:DWORD src1_sel:BYTE_0
	v_lshlrev_b32_sdwa v32, v31, v32 dst_sel:DWORD dst_unused:UNUSED_PAD src0_sel:DWORD src1_sel:BYTE_1
	global_load_dwordx2 v[142:143], v33, s[4:5]
	global_load_dwordx2 v[144:145], v32, s[4:5] offset:2048
	v_mul_lo_u32 v32, v30, v48
	v_lshlrev_b32_sdwa v33, v31, v32 dst_sel:DWORD dst_unused:UNUSED_PAD src0_sel:DWORD src1_sel:BYTE_0
	;; [unrolled: 5-line block ×3, first 2 shown]
	v_lshlrev_b32_sdwa v32, v31, v32 dst_sel:DWORD dst_unused:UNUSED_PAD src0_sel:DWORD src1_sel:BYTE_1
	v_pk_fma_f32 v[220:221], v[160:161], v[172:173], v[218:219] neg_lo:[0,0,1] neg_hi:[0,0,1]
	global_load_dwordx2 v[160:161], v33, s[4:5]
	global_load_dwordx2 v[164:165], v32, s[4:5] offset:2048
	v_mul_lo_u32 v32, v30, v50
	v_lshlrev_b32_sdwa v33, v31, v32 dst_sel:DWORD dst_unused:UNUSED_PAD src0_sel:DWORD src1_sel:BYTE_0
	v_lshlrev_b32_sdwa v32, v31, v32 dst_sel:DWORD dst_unused:UNUSED_PAD src0_sel:DWORD src1_sel:BYTE_1
	v_pk_mul_f32 v[114:115], v[166:167], v[186:187]
	global_load_dwordx2 v[166:167], v33, s[4:5]
	global_load_dwordx2 v[172:173], v32, s[4:5] offset:2048
	v_mul_lo_u32 v32, v30, v51
	v_lshlrev_b32_sdwa v33, v31, v32 dst_sel:DWORD dst_unused:UNUSED_PAD src0_sel:DWORD src1_sel:BYTE_0
	v_lshlrev_b32_sdwa v32, v31, v32 dst_sel:DWORD dst_unused:UNUSED_PAD src0_sel:DWORD src1_sel:BYTE_1
	global_load_dwordx2 v[176:177], v33, s[4:5]
	global_load_dwordx2 v[180:181], v32, s[4:5] offset:2048
	v_mul_lo_u32 v32, v30, v56
	v_lshlrev_b32_sdwa v33, v31, v32 dst_sel:DWORD dst_unused:UNUSED_PAD src0_sel:DWORD src1_sel:BYTE_0
	v_lshlrev_b32_sdwa v32, v31, v32 dst_sel:DWORD dst_unused:UNUSED_PAD src0_sel:DWORD src1_sel:BYTE_1
	;; [unrolled: 5-line block ×5, first 2 shown]
	global_load_dwordx2 v[246:247], v32, s[4:5]
	global_load_dwordx2 v[248:249], v30, s[4:5] offset:2048
	v_mov_b32_e32 v190, v169
	v_pk_mul_f32 v[190:191], v[190:191], v[184:185]
	v_mov_b32_e32 v230, v195
	v_pk_fma_f32 v[188:189], v[168:169], v[120:121], v[190:191] op_sel_hi:[1,0,1]
	v_pk_fma_f32 v[224:225], v[168:169], v[184:185], v[230:231] neg_lo:[0,0,1] neg_hi:[0,0,1]
	v_pk_fma_f32 v[168:169], v[118:119], v[182:183], v[116:117]
	v_pk_mul_f32 v[116:117], v[118:119], v[182:183] op_sel:[1,0] op_sel_hi:[0,1]
	v_mov_b32_e32 v118, v114
	v_mov_b32_e32 v119, v116
	;; [unrolled: 1-line block ×3, first 2 shown]
	v_pk_add_f32 v[240:241], v[118:119], v[116:117] neg_lo:[0,1] neg_hi:[0,1]
	v_pk_add_f32 v[184:185], v[200:201], v[168:169] neg_lo:[0,1] neg_hi:[0,1]
	v_mov_b32_e32 v31, v240
	v_pk_add_f32 v[30:31], v[30:31], v[240:241]
	v_pk_add_f32 v[120:121], v[200:201], v[168:169]
	v_mov_b32_e32 v30, v241
	v_pk_add_f32 v[122:123], v[240:241], v[30:31] neg_lo:[0,1] neg_hi:[0,1]
	v_mov_b32_e32 v121, v184
	v_pk_mul_f32 v[254:255], v[120:121], s[6:7]
	s_mov_b32 s4, 0xbeb58ec6
	s_waitcnt vmcnt(24)
	v_mov_b32_e32 v30, v127
	v_pk_mul_f32 v[114:115], v[124:125], v[30:31] op_sel:[1,0] op_sel_hi:[0,1]
	v_pk_fma_f32 v[186:187], v[124:125], v[126:127], v[114:115] neg_lo:[0,0,1] neg_hi:[0,0,1]
	v_pk_mul_f32 v[114:115], v[124:125], v[126:127] op_sel:[1,0] op_sel_hi:[0,1]
	v_mov_b32_e32 v30, v115
	v_pk_fma_f32 v[242:243], v[124:125], v[126:127], v[30:31] op_sel:[1,0,0] op_sel_hi:[0,1,1]
	v_pk_fma_f32 v[184:185], v[122:123], s[30:31], v[254:255] neg_lo:[1,0,0] neg_hi:[1,0,0]
	s_mov_b32 s5, 0xbf6f5d39
	s_mov_b32 s12, s5
	s_waitcnt vmcnt(22)
	v_mov_b32_e32 v30, v131
	v_pk_mul_f32 v[114:115], v[128:129], v[30:31] op_sel:[1,0] op_sel_hi:[0,1]
	v_pk_fma_f32 v[226:227], v[128:129], v[130:131], v[114:115] neg_lo:[0,0,1] neg_hi:[0,0,1]
	v_pk_mul_f32 v[114:115], v[128:129], v[130:131] op_sel:[1,0] op_sel_hi:[0,1]
	v_mov_b32_e32 v30, v115
	v_pk_fma_f32 v[230:231], v[128:129], v[130:131], v[30:31] op_sel:[1,0,0] op_sel_hi:[0,1,1]
	s_mov_b32 s13, s4
	s_waitcnt vmcnt(20)
	v_mov_b32_e32 v30, v135
	v_pk_mul_f32 v[114:115], v[132:133], v[30:31] op_sel:[1,0] op_sel_hi:[0,1]
	v_pk_fma_f32 v[182:183], v[132:133], v[134:135], v[114:115] neg_lo:[0,0,1] neg_hi:[0,0,1]
	v_pk_mul_f32 v[114:115], v[132:133], v[134:135] op_sel:[1,0] op_sel_hi:[0,1]
	v_mov_b32_e32 v30, v115
	v_pk_fma_f32 v[190:191], v[132:133], v[134:135], v[30:31] op_sel:[1,0,0] op_sel_hi:[0,1,1]
	s_waitcnt vmcnt(18)
	v_mov_b32_e32 v30, v139
	v_pk_mul_f32 v[114:115], v[136:137], v[30:31] op_sel:[1,0] op_sel_hi:[0,1]
	v_pk_fma_f32 v[134:135], v[136:137], v[138:139], v[114:115] neg_lo:[0,0,1] neg_hi:[0,0,1]
	v_pk_mul_f32 v[114:115], v[136:137], v[138:139] op_sel:[1,0] op_sel_hi:[0,1]
	v_mov_b32_e32 v30, v115
	v_pk_fma_f32 v[140:141], v[136:137], v[138:139], v[30:31] op_sel:[1,0,0] op_sel_hi:[0,1,1]
	;; [unrolled: 7-line block ×4, first 2 shown]
	s_waitcnt vmcnt(12)
	v_mov_b32_e32 v30, v165
	v_pk_mul_f32 v[116:117], v[160:161], v[164:165] op_sel:[1,0] op_sel_hi:[0,1]
	v_pk_mul_f32 v[114:115], v[160:161], v[30:31] op_sel:[1,0] op_sel_hi:[0,1]
	v_mov_b32_e32 v30, v117
	v_pk_fma_f32 v[116:117], v[160:161], v[164:165], v[30:31] op_sel:[1,0,0] op_sel_hi:[0,1,1]
	s_waitcnt vmcnt(10)
	v_mov_b32_e32 v30, v173
	v_pk_mul_f32 v[128:129], v[166:167], v[172:173] op_sel:[1,0] op_sel_hi:[0,1]
	v_pk_mul_f32 v[126:127], v[166:167], v[30:31] op_sel:[1,0] op_sel_hi:[0,1]
	v_mov_b32_e32 v30, v129
	v_pk_fma_f32 v[128:129], v[166:167], v[172:173], v[30:31] op_sel:[1,0,0] op_sel_hi:[0,1,1]
	s_waitcnt vmcnt(8)
	v_mov_b32_e32 v30, v181
	v_pk_mul_f32 v[136:137], v[176:177], v[30:31] op_sel:[1,0] op_sel_hi:[0,1]
	v_pk_fma_f32 v[138:139], v[176:177], v[180:181], v[136:137] neg_lo:[0,0,1] neg_hi:[0,0,1]
	v_pk_mul_f32 v[136:137], v[176:177], v[180:181] op_sel:[1,0] op_sel_hi:[0,1]
	v_mov_b32_e32 v30, v137
	v_pk_fma_f32 v[142:143], v[176:177], v[180:181], v[30:31] op_sel:[1,0,0] op_sel_hi:[0,1,1]
	s_waitcnt vmcnt(6)
	v_mov_b32_e32 v30, v197
	v_pk_mul_f32 v[136:137], v[192:193], v[30:31] op_sel:[1,0] op_sel_hi:[0,1]
	v_pk_fma_f32 v[194:195], v[192:193], v[196:197], v[136:137] neg_lo:[0,0,1] neg_hi:[0,0,1]
	;; [unrolled: 7-line block ×3, first 2 shown]
	v_pk_mul_f32 v[136:137], v[202:203], v[218:219] op_sel:[1,0] op_sel_hi:[0,1]
	v_mov_b32_e32 v30, v137
	v_pk_fma_f32 v[124:125], v[160:161], v[164:165], v[114:115] neg_lo:[0,0,1] neg_hi:[0,0,1]
	v_pk_fma_f32 v[114:115], v[202:203], v[218:219], v[30:31] op_sel:[1,0,0] op_sel_hi:[0,1,1]
	s_waitcnt vmcnt(2)
	v_mov_b32_e32 v30, v239
	v_pk_mul_f32 v[136:137], v[228:229], v[30:31] op_sel:[1,0] op_sel_hi:[0,1]
	v_pk_fma_f32 v[236:237], v[228:229], v[238:239], v[136:137] neg_lo:[0,0,1] neg_hi:[0,0,1]
	v_pk_mul_f32 v[136:137], v[228:229], v[238:239] op_sel:[1,0] op_sel_hi:[0,1]
	v_mov_b32_e32 v30, v137
	v_pk_add_f32 v[136:137], v[148:149], v[150:151]
	v_pk_add_f32 v[144:145], v[148:149], v[150:151] neg_lo:[0,1] neg_hi:[0,1]
	v_pk_add_f32 v[146:147], v[170:171], v[154:155] neg_lo:[0,1] neg_hi:[0,1]
	v_mov_b32_e32 v137, v144
	v_pk_add_f32 v[144:145], v[170:171], v[154:155]
	v_pk_add_f32 v[152:153], v[174:175], v[156:157]
	v_mov_b32_e32 v145, v146
	v_pk_add_f32 v[146:147], v[174:175], v[156:157] neg_lo:[0,1] neg_hi:[0,1]
	v_pk_add_f32 v[164:165], v[222:223], v[206:207]
	v_mov_b32_e32 v153, v146
	v_pk_add_f32 v[146:147], v[178:179], v[158:159] neg_lo:[0,1] neg_hi:[0,1]
	v_pk_fma_f32 v[238:239], v[228:229], v[238:239], v[30:31] op_sel:[1,0,0] op_sel_hi:[0,1,1]
	s_waitcnt vmcnt(0)
	v_mul_f32_e32 v30, v247, v249
	v_mov_b32_e32 v147, v164
	v_pk_add_f32 v[176:177], v[188:189], v[162:163]
	v_pk_add_f32 v[164:165], v[188:189], v[162:163] neg_lo:[0,1] neg_hi:[0,1]
	v_pk_fma_f32 v[126:127], v[166:167], v[172:173], v[126:127] neg_lo:[0,0,1] neg_hi:[0,0,1]
	v_fma_f32 v59, v246, v248, -v30
	v_pk_add_f32 v[166:167], v[178:179], v[158:159]
	v_mov_b32_e32 v177, v164
	v_pk_add_f32 v[180:181], v[224:225], v[204:205] neg_lo:[0,1] neg_hi:[0,1]
	v_pk_add_f32 v[196:197], v[224:225], v[204:205]
	v_mov_b32_e32 v30, v122
	v_mul_f32_e32 v169, v246, v249
	v_mov_b32_e32 v167, v146
	v_pk_add_f32 v[172:173], v[222:223], v[206:207] neg_lo:[0,1] neg_hi:[0,1]
	v_pk_mul_f32 v[250:251], v[176:177], s[22:23]
	v_mov_b32_e32 v164, v180
	v_mov_b32_e32 v165, v196
	v_pk_fma_f32 v[244:245], v[30:31], s[30:31], v[254:255]
	v_accvgpr_write_b32 a22, v32
	v_fmac_f32_e32 v169, v248, v247
	v_pk_mul_f32 v[248:249], v[166:167], s[28:29]
	v_mov_b32_e32 v146, v172
	v_pk_fma_f32 v[196:197], v[180:181], s[20:21], v[250:251] neg_lo:[1,0,0] neg_hi:[1,0,0]
	v_pk_fma_f32 v[252:253], v[164:165], s[20:21], v[250:251]
	v_mov_b32_e32 v185, v245
	v_accvgpr_write_b32 a23, v33
	v_pk_fma_f32 v[192:193], v[172:173], s[26:27], v[248:249] neg_lo:[1,0,0] neg_hi:[1,0,0]
	v_mov_b32_e32 v197, v253
	v_pk_add_f32 v[184:185], v[184:185], v[112:113]
	v_pk_fma_f32 v[32:33], v[146:147], s[26:27], v[248:249]
	v_pk_add_f32 v[184:185], v[196:197], v[184:185]
	v_mov_b32_e32 v193, v33
	v_pk_add_f32 v[160:161], v[220:221], v[208:209] neg_lo:[0,1] neg_hi:[0,1]
	v_pk_add_f32 v[184:185], v[192:193], v[184:185]
	v_pk_add_f32 v[192:193], v[220:221], v[208:209]
	v_pk_mul_f32 v[246:247], v[152:153], s[4:5]
	v_mov_b32_e32 v193, v192
	v_mov_b32_e32 v192, v160
	v_pk_fma_f32 v[196:197], v[160:161], s[12:13], v[246:247] neg_lo:[1,0,0] neg_hi:[1,0,0]
	v_pk_fma_f32 v[234:235], v[192:193], s[12:13], v[246:247]
	v_pk_add_f32 v[218:219], v[216:217], v[212:213] neg_lo:[0,1] neg_hi:[0,1]
	v_mov_b32_e32 v197, v235
	v_pk_add_f32 v[184:185], v[196:197], v[184:185]
	v_pk_add_f32 v[196:197], v[216:217], v[212:213]
	v_add_f32_e32 v33, v240, v113
	v_mov_b32_e32 v197, v196
	v_mov_b32_e32 v196, v218
	v_pk_mul_f32 v[36:37], v[144:145], s[18:19]
	v_add_f32_e32 v33, v33, v224
	v_pk_fma_f32 v[202:203], v[218:219], s[14:15], v[36:37] neg_lo:[1,0,0] neg_hi:[1,0,0]
	v_pk_fma_f32 v[38:39], v[196:197], s[14:15], v[36:37]
	v_add_f32_e32 v33, v33, v222
	v_mov_b32_e32 v203, v39
	v_add_f32_e32 v33, v33, v220
	v_pk_add_f32 v[184:185], v[202:203], v[184:185]
	v_pk_add_f32 v[202:203], v[210:211], v[214:215]
	v_pk_add_f32 v[228:229], v[210:211], v[214:215] neg_lo:[0,1] neg_hi:[0,1]
	v_add_f32_e32 v33, v33, v216
	v_mov_b32_e32 v203, v202
	v_mov_b32_e32 v202, v228
	v_pk_mul_f32 v[42:43], v[136:137], s[24:25]
	v_add_f32_e32 v33, v33, v210
	v_pk_fma_f32 v[44:45], v[228:229], s[16:17], v[42:43] neg_lo:[1,0,0] neg_hi:[1,0,0]
	v_pk_fma_f32 v[46:47], v[202:203], s[16:17], v[42:43]
	v_add_f32_e32 v33, v33, v214
	v_mov_b32_e32 v45, v47
	v_add_f32_e32 v33, v33, v212
	v_pk_add_f32 v[44:45], v[44:45], v[184:185]
	v_add_f32_e32 v33, v33, v208
	v_pk_mul_f32 v[242:243], v[44:45], v[242:243] op_sel_hi:[1,0]
	v_add_f32_e32 v33, v33, v206
	v_pk_fma_f32 v[184:185], v[44:45], v[186:187], v[242:243] op_sel:[0,0,1] op_sel_hi:[1,1,0]
	v_pk_fma_f32 v[186:187], v[44:45], v[186:187], v[242:243] op_sel:[0,0,1] op_sel_hi:[1,0,0] neg_lo:[0,0,1] neg_hi:[0,0,1]
	v_mad_u64_u32 v[44:45], s[34:35], s10, v1, v[28:29]
	v_add_f32_e32 v1, v33, v204
	v_add_f32_e32 v33, v200, v112
	;; [unrolled: 1-line block ×6, first 2 shown]
	v_mad_u64_u32 v[170:171], s[34:35], s10, v27, v[28:29]
	v_add_f32_e32 v27, v33, v148
	v_add_f32_e32 v27, v27, v150
	;; [unrolled: 1-line block ×6, first 2 shown]
	v_pk_fma_f32 v[36:37], v[196:197], s[14:15], v[36:37] neg_lo:[0,0,1] neg_hi:[0,0,1]
	v_add_f32_e32 v27, v27, v168
	v_mov_b32_e32 v39, v37
	v_pk_fma_f32 v[36:37], v[192:193], s[12:13], v[246:247] neg_lo:[0,0,1] neg_hi:[0,0,1]
	v_add_f32_e32 v1, v1, v241
	v_mul_f32_e32 v33, v27, v169
	v_mov_b32_e32 v235, v37
	v_pk_fma_f32 v[36:37], v[146:147], s[26:27], v[248:249] neg_lo:[0,0,1] neg_hi:[0,0,1]
	v_fma_f32 v149, v1, v59, -v33
	v_mov_b32_e32 v33, v37
	v_pk_fma_f32 v[36:37], v[164:165], s[20:21], v[250:251] neg_lo:[0,0,1] neg_hi:[0,0,1]
	v_pk_fma_f32 v[42:43], v[202:203], s[16:17], v[42:43] neg_lo:[0,0,1] neg_hi:[0,0,1]
	v_mov_b32_e32 v253, v37
	v_pk_fma_f32 v[36:37], v[30:31], s[30:31], v[254:255] neg_lo:[0,0,1] neg_hi:[0,0,1]
	v_mov_b32_e32 v47, v43
	v_mov_b32_e32 v245, v37
	v_pk_add_f32 v[36:37], v[244:245], v[112:113]
	v_mov_b32_e32 v45, 0
	v_pk_add_f32 v[36:37], v[252:253], v[36:37]
	v_mad_u64_u32 v[204:205], s[34:35], s10, v58, v[28:29]
	v_pk_add_f32 v[32:33], v[32:33], v[36:37]
	v_mov_b32_e32 v205, v45
	v_pk_add_f32 v[32:33], v[234:235], v[32:33]
	v_mad_u64_u32 v[206:207], s[34:35], s10, v57, v[28:29]
	v_pk_add_f32 v[32:33], v[38:39], v[32:33]
	v_mad_u64_u32 v[208:209], s[34:35], s10, v56, v[28:29]
	;; [unrolled: 2-line block ×3, first 2 shown]
	v_pk_mul_f32 v[36:37], v[32:33], v[238:239] op_sel_hi:[1,0]
	v_mad_u64_u32 v[200:201], s[34:35], s10, v50, v[28:29]
	v_mad_u64_u32 v[188:189], s[34:35], s10, v49, v[28:29]
	;; [unrolled: 1-line block ×7, first 2 shown]
	v_mul_f32_e32 v148, v1, v169
	v_pk_fma_f32 v[38:39], v[32:33], v[236:237], v[36:37] op_sel:[0,0,1] op_sel_hi:[1,1,0]
	v_pk_fma_f32 v[32:33], v[32:33], v[236:237], v[36:37] op_sel:[0,0,1] op_sel_hi:[1,0,0] neg_lo:[0,0,1] neg_hi:[0,0,1]
	v_mov_b32_e32 v207, v45
	v_mov_b32_e32 v209, v45
	;; [unrolled: 1-line block ×11, first 2 shown]
	v_lshl_add_u64 v[44:45], v[44:45], 3, s[8:9]
	v_lshl_add_u64 v[220:221], v[204:205], 3, s[8:9]
	v_fmac_f32_e32 v148, v27, v59
	v_mov_b32_e32 v39, v33
	v_pk_mul_f32 v[32:33], v[120:121], s[22:23]
	s_mov_b32 s7, 0x3eedf032
	global_store_dwordx2 v[44:45], v[148:149], off
	global_store_dwordx2 v[220:221], v[38:39], off
	v_pk_fma_f32 v[36:37], v[122:123], s[20:21], v[32:33] neg_lo:[1,0,0] neg_hi:[1,0,0]
	v_pk_fma_f32 v[38:39], v[30:31], s[20:21], v[32:33]
	v_pk_mul_f32 v[42:43], v[136:137], s[6:7]
	s_mov_b32 s30, s7
	v_pk_fma_f32 v[32:33], v[30:31], s[20:21], v[32:33] neg_lo:[0,0,1] neg_hi:[0,0,1]
	v_mov_b32_e32 v37, v39
	v_pk_fma_f32 v[44:45], v[228:229], s[30:31], v[42:43] neg_lo:[1,0,0] neg_hi:[1,0,0]
	v_pk_fma_f32 v[46:47], v[202:203], s[30:31], v[42:43]
	v_pk_mul_f32 v[154:155], v[144:145], s[36:37]
	s_mov_b32 s34, s37
	s_mov_b32 s35, s28
	v_mov_b32_e32 v39, v33
	v_pk_fma_f32 v[32:33], v[202:203], s[30:31], v[42:43] neg_lo:[0,0,1] neg_hi:[0,0,1]
	v_mov_b32_e32 v45, v47
	v_pk_fma_f32 v[148:149], v[218:219], s[34:35], v[154:155] neg_lo:[1,0,0] neg_hi:[1,0,0]
	v_pk_fma_f32 v[156:157], v[196:197], s[34:35], v[154:155]
	v_pk_mul_f32 v[158:159], v[152:153], s[42:43]
	v_mov_b32_e32 v47, v33
	v_pk_fma_f32 v[32:33], v[196:197], s[34:35], v[154:155] neg_lo:[0,0,1] neg_hi:[0,0,1]
	v_lshl_add_u64 v[224:225], v[208:209], 3, s[8:9]
	v_lshl_add_u64 v[208:209], v[200:201], 3, s[8:9]
	;; [unrolled: 1-line block ×5, first 2 shown]
	v_mov_b32_e32 v149, v157
	v_pk_fma_f32 v[150:151], v[160:161], s[38:39], v[158:159] neg_lo:[1,0,0] neg_hi:[1,0,0]
	v_pk_fma_f32 v[162:163], v[192:193], s[38:39], v[158:159]
	v_pk_mul_f32 v[168:169], v[166:167], s[24:25]
	v_pk_mul_f32 v[216:217], v[176:177], s[4:5]
	v_mov_b32_e32 v157, v33
	v_pk_fma_f32 v[32:33], v[192:193], s[38:39], v[158:159] neg_lo:[0,0,1] neg_hi:[0,0,1]
	v_lshl_add_u64 v[222:223], v[206:207], 3, s[8:9]
	v_lshl_add_u64 v[206:207], v[188:189], 3, s[8:9]
	;; [unrolled: 1-line block ×4, first 2 shown]
	v_mov_b32_e32 v151, v163
	v_pk_fma_f32 v[212:213], v[172:173], s[16:17], v[168:169] neg_lo:[1,0,0] neg_hi:[1,0,0]
	v_pk_fma_f32 v[214:215], v[146:147], s[16:17], v[168:169]
	v_pk_fma_f32 v[220:221], v[180:181], s[12:13], v[216:217] neg_lo:[1,0,0] neg_hi:[1,0,0]
	v_pk_fma_f32 v[234:235], v[164:165], s[12:13], v[216:217]
	v_mov_b32_e32 v163, v33
	v_pk_fma_f32 v[32:33], v[146:147], s[16:17], v[168:169] neg_lo:[0,0,1] neg_hi:[0,0,1]
	v_mov_b32_e32 v213, v215
	v_mov_b32_e32 v221, v235
	v_pk_add_f32 v[36:37], v[36:37], v[112:113]
	v_mov_b32_e32 v215, v33
	v_pk_fma_f32 v[32:33], v[164:165], s[12:13], v[216:217] neg_lo:[0,0,1] neg_hi:[0,0,1]
	v_pk_add_f32 v[36:37], v[220:221], v[36:37]
	v_mov_b32_e32 v235, v33
	v_pk_add_f32 v[32:33], v[38:39], v[112:113]
	v_pk_add_f32 v[36:37], v[212:213], v[36:37]
	;; [unrolled: 1-line block ×9, first 2 shown]
	v_pk_mul_f32 v[44:45], v[36:37], v[230:231] op_sel_hi:[1,0]
	v_pk_add_f32 v[32:33], v[46:47], v[32:33]
	v_pk_fma_f32 v[148:149], v[36:37], v[226:227], v[44:45] op_sel:[0,0,1] op_sel_hi:[1,1,0]
	v_pk_fma_f32 v[150:151], v[36:37], v[226:227], v[44:45] op_sel:[0,0,1] op_sel_hi:[1,0,0] neg_lo:[0,0,1] neg_hi:[0,0,1]
	v_pk_mul_f32 v[36:37], v[32:33], v[114:115] op_sel_hi:[1,0]
	v_pk_mul_f32 v[42:43], v[136:137], s[18:19]
	v_pk_fma_f32 v[38:39], v[32:33], v[232:233], v[36:37] op_sel:[0,0,1] op_sel_hi:[1,1,0]
	v_pk_fma_f32 v[32:33], v[32:33], v[232:233], v[36:37] op_sel:[0,0,1] op_sel_hi:[1,0,0] neg_lo:[0,0,1] neg_hi:[0,0,1]
	v_pk_fma_f32 v[44:45], v[228:229], s[14:15], v[42:43] neg_lo:[1,0,0] neg_hi:[1,0,0]
	v_mov_b32_e32 v39, v33
	v_pk_mul_f32 v[32:33], v[120:121], s[28:29]
	global_store_dwordx2 v[222:223], v[38:39], off
	v_pk_fma_f32 v[36:37], v[122:123], s[26:27], v[32:33] neg_lo:[1,0,0] neg_hi:[1,0,0]
	v_pk_fma_f32 v[38:39], v[30:31], s[26:27], v[32:33]
	v_pk_fma_f32 v[32:33], v[30:31], s[26:27], v[32:33] neg_lo:[0,0,1] neg_hi:[0,0,1]
	v_mov_b32_e32 v37, v39
	v_pk_fma_f32 v[46:47], v[202:203], s[14:15], v[42:43]
	v_pk_mul_f32 v[114:115], v[144:145], s[22:23]
	v_mov_b32_e32 v39, v33
	v_pk_fma_f32 v[32:33], v[202:203], s[14:15], v[42:43] neg_lo:[0,0,1] neg_hi:[0,0,1]
	v_mov_b32_e32 v45, v47
	v_pk_fma_f32 v[154:155], v[218:219], s[20:21], v[114:115] neg_lo:[1,0,0] neg_hi:[1,0,0]
	v_pk_fma_f32 v[158:159], v[196:197], s[20:21], v[114:115]
	v_pk_mul_f32 v[162:163], v[152:153], s[6:7]
	s_mov_b32 s40, s4
	v_mov_b32_e32 v47, v33
	v_pk_fma_f32 v[32:33], v[196:197], s[20:21], v[114:115] neg_lo:[0,0,1] neg_hi:[0,0,1]
	v_mov_b32_e32 v155, v159
	v_pk_fma_f32 v[156:157], v[160:161], s[30:31], v[162:163] neg_lo:[1,0,0] neg_hi:[1,0,0]
	v_pk_fma_f32 v[168:169], v[192:193], s[30:31], v[162:163]
	v_pk_mul_f32 v[212:213], v[166:167], s[40:41]
	s_mov_b32 s40, s41
	s_mov_b32 s41, s4
	v_pk_mul_f32 v[220:221], v[176:177], s[24:25]
	v_mov_b32_e32 v159, v33
	v_pk_fma_f32 v[32:33], v[192:193], s[30:31], v[162:163] neg_lo:[0,0,1] neg_hi:[0,0,1]
	v_mov_b32_e32 v157, v169
	v_pk_fma_f32 v[214:215], v[172:173], s[40:41], v[212:213] neg_lo:[1,0,0] neg_hi:[1,0,0]
	v_pk_fma_f32 v[216:217], v[146:147], s[40:41], v[212:213]
	v_pk_fma_f32 v[222:223], v[180:181], s[16:17], v[220:221] neg_lo:[1,0,0] neg_hi:[1,0,0]
	v_pk_fma_f32 v[226:227], v[164:165], s[16:17], v[220:221]
	v_mov_b32_e32 v169, v33
	v_pk_fma_f32 v[32:33], v[146:147], s[40:41], v[212:213] neg_lo:[0,0,1] neg_hi:[0,0,1]
	v_mov_b32_e32 v215, v217
	v_mov_b32_e32 v223, v227
	v_pk_add_f32 v[36:37], v[36:37], v[112:113]
	v_mov_b32_e32 v217, v33
	v_pk_fma_f32 v[32:33], v[164:165], s[16:17], v[220:221] neg_lo:[0,0,1] neg_hi:[0,0,1]
	v_pk_add_f32 v[36:37], v[222:223], v[36:37]
	v_mov_b32_e32 v227, v33
	v_pk_add_f32 v[32:33], v[38:39], v[112:113]
	v_pk_add_f32 v[36:37], v[214:215], v[36:37]
	;; [unrolled: 1-line block ×9, first 2 shown]
	v_pk_mul_f32 v[44:45], v[36:37], v[190:191] op_sel_hi:[1,0]
	v_pk_add_f32 v[32:33], v[46:47], v[32:33]
	v_pk_fma_f32 v[154:155], v[36:37], v[182:183], v[44:45] op_sel:[0,0,1] op_sel_hi:[1,1,0]
	v_pk_fma_f32 v[156:157], v[36:37], v[182:183], v[44:45] op_sel:[0,0,1] op_sel_hi:[1,0,0] neg_lo:[0,0,1] neg_hi:[0,0,1]
	v_pk_mul_f32 v[36:37], v[32:33], v[198:199] op_sel_hi:[1,0]
	v_pk_mul_f32 v[42:43], v[136:137], s[44:45]
	v_pk_fma_f32 v[38:39], v[32:33], v[194:195], v[36:37] op_sel:[0,0,1] op_sel_hi:[1,1,0]
	v_pk_fma_f32 v[32:33], v[32:33], v[194:195], v[36:37] op_sel:[0,0,1] op_sel_hi:[1,0,0] neg_lo:[0,0,1] neg_hi:[0,0,1]
	s_mov_b32 s40, s45
	v_mov_b32_e32 v39, v33
	v_pk_mul_f32 v[32:33], v[120:121], s[4:5]
	global_store_dwordx2 v[224:225], v[38:39], off
	v_pk_fma_f32 v[36:37], v[122:123], s[12:13], v[32:33] neg_lo:[1,0,0] neg_hi:[1,0,0]
	v_pk_fma_f32 v[38:39], v[30:31], s[12:13], v[32:33]
	s_mov_b32 s41, s22
	v_pk_fma_f32 v[32:33], v[30:31], s[12:13], v[32:33] neg_lo:[0,0,1] neg_hi:[0,0,1]
	v_mov_b32_e32 v37, v39
	v_pk_fma_f32 v[44:45], v[228:229], s[40:41], v[42:43] neg_lo:[1,0,0] neg_hi:[1,0,0]
	v_pk_fma_f32 v[46:47], v[202:203], s[40:41], v[42:43]
	v_pk_mul_f32 v[114:115], v[144:145], s[48:49]
	v_mov_b32_e32 v39, v33
	v_pk_fma_f32 v[32:33], v[202:203], s[40:41], v[42:43] neg_lo:[0,0,1] neg_hi:[0,0,1]
	v_mov_b32_e32 v45, v47
	v_pk_fma_f32 v[158:159], v[218:219], s[46:47], v[114:115] neg_lo:[1,0,0] neg_hi:[1,0,0]
	v_pk_fma_f32 v[162:163], v[196:197], s[46:47], v[114:115]
	v_pk_mul_f32 v[168:169], v[152:153], s[28:29]
	v_mov_b32_e32 v47, v33
	;; [unrolled: 6-line block ×4, first 2 shown]
	v_pk_fma_f32 v[32:33], v[146:147], s[30:31], v[194:195] neg_lo:[0,0,1] neg_hi:[0,0,1]
	v_mov_b32_e32 v199, v213
	v_pk_fma_f32 v[216:217], v[180:181], s[38:39], v[214:215] neg_lo:[1,0,0] neg_hi:[1,0,0]
	v_pk_fma_f32 v[220:221], v[164:165], s[38:39], v[214:215]
	v_mov_b32_e32 v213, v33
	v_pk_fma_f32 v[32:33], v[164:165], s[38:39], v[214:215] neg_lo:[0,0,1] neg_hi:[0,0,1]
	v_mov_b32_e32 v217, v221
	v_mov_b32_e32 v221, v33
	v_pk_add_f32 v[32:33], v[38:39], v[112:113]
	v_pk_add_f32 v[36:37], v[36:37], v[112:113]
	;; [unrolled: 1-line block ×12, first 2 shown]
	v_pk_mul_f32 v[38:39], v[32:33], v[142:143] op_sel_hi:[1,0]
	v_lshl_add_u64 v[210:211], v[210:211], 3, s[8:9]
	v_pk_fma_f32 v[42:43], v[32:33], v[138:139], v[38:39] op_sel:[0,0,1] op_sel_hi:[1,1,0]
	v_pk_fma_f32 v[32:33], v[32:33], v[138:139], v[38:39] op_sel:[0,0,1] op_sel_hi:[1,0,0] neg_lo:[0,0,1] neg_hi:[0,0,1]
	v_pk_mul_f32 v[44:45], v[36:37], v[140:141] op_sel_hi:[1,0]
	v_mov_b32_e32 v43, v33
	v_pk_mul_f32 v[32:33], v[120:121], s[18:19]
	v_pk_fma_f32 v[140:141], v[36:37], v[134:135], v[44:45] op_sel:[0,0,1] op_sel_hi:[1,1,0]
	v_pk_fma_f32 v[36:37], v[36:37], v[134:135], v[44:45] op_sel:[0,0,1] op_sel_hi:[1,0,0] neg_lo:[0,0,1] neg_hi:[0,0,1]
	global_store_dwordx2 v[210:211], v[42:43], off
	v_pk_fma_f32 v[38:39], v[122:123], s[14:15], v[32:33] neg_lo:[1,0,0] neg_hi:[1,0,0]
	v_pk_fma_f32 v[42:43], v[30:31], s[14:15], v[32:33]
	v_pk_mul_f32 v[44:45], v[136:137], s[4:5]
	v_pk_fma_f32 v[32:33], v[30:31], s[14:15], v[32:33] neg_lo:[0,0,1] neg_hi:[0,0,1]
	v_mov_b32_e32 v39, v43
	v_pk_fma_f32 v[46:47], v[228:229], s[12:13], v[44:45] neg_lo:[1,0,0] neg_hi:[1,0,0]
	v_pk_fma_f32 v[114:115], v[202:203], s[12:13], v[44:45]
	v_pk_mul_f32 v[134:135], v[144:145], s[6:7]
	v_mov_b32_e32 v43, v33
	v_pk_fma_f32 v[32:33], v[202:203], s[12:13], v[44:45] neg_lo:[0,0,1] neg_hi:[0,0,1]
	v_mov_b32_e32 v47, v115
	v_pk_fma_f32 v[138:139], v[218:219], s[30:31], v[134:135] neg_lo:[1,0,0] neg_hi:[1,0,0]
	v_pk_fma_f32 v[142:143], v[196:197], s[30:31], v[134:135]
	v_pk_mul_f32 v[158:159], v[152:153], s[48:49]
	v_mov_b32_e32 v115, v33
	v_pk_fma_f32 v[32:33], v[196:197], s[30:31], v[134:135] neg_lo:[0,0,1] neg_hi:[0,0,1]
	v_mov_b32_e32 v139, v143
	v_pk_fma_f32 v[162:163], v[160:161], s[46:47], v[158:159] neg_lo:[1,0,0] neg_hi:[1,0,0]
	v_pk_fma_f32 v[168:169], v[192:193], s[46:47], v[158:159]
	v_pk_mul_f32 v[182:183], v[166:167], s[22:23]
	v_mov_b32_e32 v143, v33
	v_pk_fma_f32 v[32:33], v[192:193], s[46:47], v[158:159] neg_lo:[0,0,1] neg_hi:[0,0,1]
	v_mov_b32_e32 v163, v169
	v_pk_fma_f32 v[190:191], v[172:173], s[20:21], v[182:183] neg_lo:[1,0,0] neg_hi:[1,0,0]
	v_pk_fma_f32 v[194:195], v[146:147], s[20:21], v[182:183]
	v_pk_mul_f32 v[198:199], v[176:177], s[36:37]
	v_mov_b32_e32 v169, v33
	v_pk_fma_f32 v[32:33], v[146:147], s[20:21], v[182:183] neg_lo:[0,0,1] neg_hi:[0,0,1]
	v_mov_b32_e32 v191, v195
	v_pk_fma_f32 v[210:211], v[180:181], s[34:35], v[198:199] neg_lo:[1,0,0] neg_hi:[1,0,0]
	v_pk_fma_f32 v[212:213], v[164:165], s[34:35], v[198:199]
	v_mov_b32_e32 v195, v33
	v_pk_fma_f32 v[32:33], v[164:165], s[34:35], v[198:199] neg_lo:[0,0,1] neg_hi:[0,0,1]
	v_mov_b32_e32 v211, v213
	v_mov_b32_e32 v213, v33
	v_pk_add_f32 v[32:33], v[42:43], v[112:113]
	v_pk_add_f32 v[38:39], v[38:39], v[112:113]
	;; [unrolled: 1-line block ×12, first 2 shown]
	v_pk_mul_f32 v[42:43], v[32:33], v[128:129] op_sel_hi:[1,0]
	v_pk_mul_f32 v[46:47], v[38:39], v[132:133] op_sel_hi:[1,0]
	v_pk_fma_f32 v[44:45], v[32:33], v[126:127], v[42:43] op_sel:[0,0,1] op_sel_hi:[1,1,0]
	v_pk_fma_f32 v[32:33], v[32:33], v[126:127], v[42:43] op_sel:[0,0,1] op_sel_hi:[1,0,0] neg_lo:[0,0,1] neg_hi:[0,0,1]
	v_pk_fma_f32 v[132:133], v[38:39], v[130:131], v[46:47] op_sel:[0,0,1] op_sel_hi:[1,1,0]
	v_mov_b32_e32 v45, v33
	v_pk_mul_f32 v[32:33], v[120:121], s[24:25]
	v_pk_fma_f32 v[38:39], v[38:39], v[130:131], v[46:47] op_sel:[0,0,1] op_sel_hi:[1,0,0] neg_lo:[0,0,1] neg_hi:[0,0,1]
	global_store_dwordx2 v[208:209], v[44:45], off
	v_pk_fma_f32 v[42:43], v[122:123], s[16:17], v[32:33] neg_lo:[1,0,0] neg_hi:[1,0,0]
	v_pk_fma_f32 v[44:45], v[30:31], s[16:17], v[32:33]
	v_pk_mul_f32 v[46:47], v[136:137], s[36:37]
	v_pk_fma_f32 v[30:31], v[30:31], s[16:17], v[32:33] neg_lo:[0,0,1] neg_hi:[0,0,1]
	v_mov_b32_e32 v43, v45
	v_pk_fma_f32 v[114:115], v[228:229], s[34:35], v[46:47] neg_lo:[1,0,0] neg_hi:[1,0,0]
	v_pk_fma_f32 v[120:121], v[202:203], s[34:35], v[46:47]
	v_pk_mul_f32 v[122:123], v[144:145], s[4:5]
	v_mov_b32_e32 v45, v31
	v_pk_fma_f32 v[30:31], v[202:203], s[34:35], v[46:47] neg_lo:[0,0,1] neg_hi:[0,0,1]
	v_mov_b32_e32 v115, v121
	v_pk_fma_f32 v[126:127], v[218:219], s[12:13], v[122:123] neg_lo:[1,0,0] neg_hi:[1,0,0]
	v_pk_fma_f32 v[128:129], v[196:197], s[12:13], v[122:123]
	v_pk_mul_f32 v[130:131], v[152:153], s[44:45]
	v_mov_b32_e32 v121, v31
	;; [unrolled: 6-line block ×4, first 2 shown]
	v_pk_fma_f32 v[30:31], v[146:147], s[14:15], v[138:139] neg_lo:[0,0,1] neg_hi:[0,0,1]
	v_mov_b32_e32 v143, v145
	v_pk_fma_f32 v[158:159], v[180:181], s[30:31], v[152:153] neg_lo:[1,0,0] neg_hi:[1,0,0]
	v_pk_fma_f32 v[160:161], v[164:165], s[30:31], v[152:153]
	v_mov_b32_e32 v145, v31
	v_pk_fma_f32 v[30:31], v[164:165], s[30:31], v[152:153] neg_lo:[0,0,1] neg_hi:[0,0,1]
	v_mov_b32_e32 v159, v161
	v_pk_add_f32 v[42:43], v[42:43], v[112:113]
	v_mov_b32_e32 v161, v31
	v_pk_add_f32 v[30:31], v[44:45], v[112:113]
	v_pk_add_f32 v[42:43], v[158:159], v[42:43]
	;; [unrolled: 1-line block ×8, first 2 shown]
	v_accvgpr_read_b32 v49, a23
	v_pk_add_f32 v[30:31], v[128:129], v[30:31]
	v_pk_add_f32 v[42:43], v[114:115], v[42:43]
	v_accvgpr_read_b32 v48, a22
	v_pk_add_f32 v[30:31], v[120:121], v[30:31]
	v_pk_mul_f32 v[114:115], v[42:43], v[48:49] op_sel_hi:[1,0]
	v_pk_mul_f32 v[32:33], v[30:31], v[116:117] op_sel_hi:[1,0]
	v_pk_fma_f32 v[126:127], v[42:43], v[118:119], v[114:115] op_sel:[0,0,1] op_sel_hi:[1,1,0]
	v_pk_fma_f32 v[42:43], v[42:43], v[118:119], v[114:115] op_sel:[0,0,1] op_sel_hi:[1,0,0] neg_lo:[0,0,1] neg_hi:[0,0,1]
	v_pk_fma_f32 v[44:45], v[30:31], v[124:125], v[32:33] op_sel:[0,0,1] op_sel_hi:[1,1,0]
	v_pk_fma_f32 v[30:31], v[30:31], v[124:125], v[32:33] op_sel:[0,0,1] op_sel_hi:[1,0,0] neg_lo:[0,0,1] neg_hi:[0,0,1]
	v_mov_b32_e32 v127, v43
	v_mov_b32_e32 v45, v31
	;; [unrolled: 1-line block ×4, first 2 shown]
	v_lshl_add_u64 v[170:171], v[170:171], 3, s[8:9]
	global_store_dwordx2 v[206:207], v[44:45], off
	global_store_dwordx2 v[204:205], v[126:127], off
	global_store_dwordx2 v[200:201], v[132:133], off
	global_store_dwordx2 v[188:189], v[140:141], off
	v_accvgpr_read_b32 v140, a0
	v_mov_b32_e32 v155, v157
	v_mov_b32_e32 v149, v151
	;; [unrolled: 1-line block ×3, first 2 shown]
	global_store_dwordx2 v[178:179], v[154:155], off
	global_store_dwordx2 v[174:175], v[148:149], off
	;; [unrolled: 1-line block ×3, first 2 shown]
.LBB0_42:
	s_or_b64 exec, exec, s[0:1]
	v_cmp_lt_u32_e64 s[0:1], 56, v0
	v_cmp_gt_u32_e64 s[4:5], 57, v0
	v_cndmask_b32_e64 v1, 0, 1, s[2:3]
	s_or_b64 vcc, s[0:1], vcc
	v_cndmask_b32_e64 v0, 0, 1, s[4:5]
	v_cndmask_b32_e32 v0, v1, v0, vcc
	v_and_b32_e32 v0, 1, v0
	v_cmp_eq_u32_e32 vcc, 1, v0
	s_and_saveexec_b64 s[0:1], vcc
	s_cbranch_execz .LBB0_44
; %bb.43:
	v_accvgpr_read_b32 v121, a21
	s_waitcnt vmcnt(2)
	v_mul_f32_e32 v34, v35, v23
	v_mul_f32_e32 v23, v52, v23
	v_accvgpr_read_b32 v120, a20
	v_fmac_f32_e32 v34, v52, v22
	v_fma_f32 v35, v35, v22, -v23
	v_mul_f32_e32 v52, v41, v25
	v_mul_f32_e32 v22, v54, v25
	v_mov_b32_e32 v30, v121
	v_mov_b32_e32 v31, v120
	v_fmac_f32_e32 v52, v54, v24
	v_fma_f32 v24, v41, v24, -v22
	v_mov_b32_e32 v22, v19
	v_pk_mul_f32 v[22:23], v[30:31], v[22:23]
	v_accvgpr_read_b32 v119, a19
	v_pk_fma_f32 v[120:121], v[120:121], v[18:19], v[22:23]
	v_pk_mul_f32 v[22:23], v[30:31], v[18:19]
	v_accvgpr_read_b32 v118, a18
	v_mov_b32_e32 v22, v23
	v_mov_b32_e32 v36, v119
	v_mov_b32_e32 v37, v118
	v_pk_fma_f32 v[122:123], v[30:31], v[18:19], v[22:23] neg_lo:[0,0,1] neg_hi:[0,0,1]
	v_mov_b32_e32 v18, v21
	v_pk_mul_f32 v[18:19], v[36:37], v[18:19]
	v_accvgpr_read_b32 v115, a17
	v_pk_fma_f32 v[124:125], v[118:119], v[20:21], v[18:19]
	v_pk_mul_f32 v[18:19], v[36:37], v[20:21]
	v_accvgpr_read_b32 v114, a16
	v_mov_b32_e32 v18, v19
	v_mov_b32_e32 v42, v115
	v_mov_b32_e32 v43, v114
	v_pk_fma_f32 v[126:127], v[36:37], v[20:21], v[18:19] neg_lo:[0,0,1] neg_hi:[0,0,1]
	;; [unrolled: 10-line block ×6, first 2 shown]
	s_waitcnt vmcnt(0)
	v_mov_b32_e32 v10, v7
	v_pk_mul_f32 v[10:11], v[38:39], v[10:11]
	v_accvgpr_read_b32 v59, a7
	v_pk_fma_f32 v[134:135], v[134:135], v[6:7], v[10:11]
	v_pk_mul_f32 v[10:11], v[38:39], v[6:7]
	v_accvgpr_read_b32 v58, a6
	v_mov_b32_e32 v10, v11
	v_mov_b32_e32 v32, v59
	;; [unrolled: 1-line block ×3, first 2 shown]
	v_pk_fma_f32 v[38:39], v[38:39], v[6:7], v[10:11] neg_lo:[0,0,1] neg_hi:[0,0,1]
	v_mov_b32_e32 v6, v9
	v_pk_mul_f32 v[6:7], v[32:33], v[6:7]
	v_accvgpr_read_b32 v51, a5
	v_pk_fma_f32 v[46:47], v[58:59], v[8:9], v[6:7]
	v_pk_mul_f32 v[6:7], v[32:33], v[8:9]
	v_accvgpr_read_b32 v50, a4
	v_mov_b32_e32 v6, v7
	v_mov_b32_e32 v0, v51
	;; [unrolled: 1-line block ×3, first 2 shown]
	v_pk_fma_f32 v[32:33], v[32:33], v[8:9], v[6:7] neg_lo:[0,0,1] neg_hi:[0,0,1]
	v_mov_b32_e32 v6, v3
	v_pk_mul_f32 v[6:7], v[0:1], v[6:7]
	v_mov_b32_e32 v10, v67
	v_pk_fma_f32 v[36:37], v[50:51], v[2:3], v[6:7]
	v_pk_mul_f32 v[6:7], v[0:1], v[2:3]
	v_pk_mul_f32 v[10:11], v[64:65], v[10:11] op_sel:[1,0] op_sel_hi:[0,1]
	v_mov_b32_e32 v6, v7
	v_pk_fma_f32 v[44:45], v[0:1], v[2:3], v[6:7] neg_lo:[0,0,1] neg_hi:[0,0,1]
	v_accvgpr_read_b32 v2, a2
	v_accvgpr_read_b32 v3, a3
	v_pk_mul_f32 v[0:1], v[2:3], v[4:5]
	v_pk_fma_f32 v[18:19], v[64:65], v[66:67], v[10:11] neg_lo:[0,0,1] neg_hi:[0,0,1]
	v_add_f32_e32 v0, v0, v1
	v_mul_f32_e32 v1, v3, v4
	v_fma_f32 v1, -v2, v5, v1
	v_add_f32_e32 v2, v26, v34
	v_add_f32_e32 v3, v29, v35
	;; [unrolled: 1-line block ×18, first 2 shown]
	v_pk_mul_f32 v[10:11], v[64:65], v[66:67] op_sel:[1,0] op_sel_hi:[0,1]
	v_add_f32_e32 v2, v2, v46
	v_add_f32_e32 v3, v3, v32
	v_mov_b32_e32 v10, v11
	v_add_f32_e32 v2, v2, v36
	v_add_f32_e32 v3, v3, v44
	v_mul_f32_e32 v4, v68, v71
	v_pk_fma_f32 v[20:21], v[64:65], v[66:67], v[10:11] op_sel:[1,0,0] op_sel_hi:[0,1,1]
	v_mov_b32_e32 v10, v83
	v_add_f32_e32 v2, v2, v0
	v_add_f32_e32 v3, v3, v1
	;; [unrolled: 1-line block ×3, first 2 shown]
	v_sub_f32_e32 v9, v34, v0
	v_mul_f32_e32 v0, v69, v71
	v_fmac_f32_e32 v4, v69, v70
	v_pk_mul_f32 v[10:11], v[80:81], v[10:11] op_sel:[1,0] op_sel_hi:[0,1]
	v_add_f32_e32 v7, v35, v1
	v_sub_f32_e32 v6, v35, v1
	v_fma_f32 v1, v68, v70, -v0
	v_mul_f32_e32 v0, v3, v4
	v_pk_fma_f32 v[40:41], v[80:81], v[82:83], v[10:11] neg_lo:[0,0,1] neg_hi:[0,0,1]
	v_pk_mul_f32 v[10:11], v[80:81], v[82:83] op_sel:[1,0] op_sel_hi:[0,1]
	v_fmac_f32_e32 v0, v2, v1
	v_mul_f32_e32 v2, v2, v4
	v_mov_b32_e32 v10, v11
	v_fma_f32 v1, v3, v1, -v2
	v_mov_b32_e32 v2, v63
	v_pk_fma_f32 v[42:43], v[80:81], v[82:83], v[10:11] op_sel:[1,0,0] op_sel_hi:[0,1,1]
	v_mov_b32_e32 v10, v79
	v_pk_mul_f32 v[2:3], v[60:61], v[2:3] op_sel:[1,0] op_sel_hi:[0,1]
	v_pk_mul_f32 v[10:11], v[76:77], v[10:11] op_sel:[1,0] op_sel_hi:[0,1]
	v_pk_fma_f32 v[68:69], v[60:61], v[62:63], v[2:3] neg_lo:[0,0,1] neg_hi:[0,0,1]
	v_pk_mul_f32 v[2:3], v[60:61], v[62:63] op_sel:[1,0] op_sel_hi:[0,1]
	v_pk_fma_f32 v[80:81], v[76:77], v[78:79], v[10:11] neg_lo:[0,0,1] neg_hi:[0,0,1]
	v_pk_mul_f32 v[10:11], v[76:77], v[78:79] op_sel:[1,0] op_sel_hi:[0,1]
	v_mov_b32_e32 v2, v3
	v_mov_b32_e32 v10, v11
	v_pk_fma_f32 v[136:137], v[60:61], v[62:63], v[2:3] op_sel:[1,0,0] op_sel_hi:[0,1,1]
	v_mov_b32_e32 v2, v75
	v_pk_mul_f32 v[4:5], v[72:73], v[74:75] op_sel:[1,0] op_sel_hi:[0,1]
	v_pk_fma_f32 v[112:113], v[76:77], v[78:79], v[10:11] op_sel:[1,0,0] op_sel_hi:[0,1,1]
	v_mov_b32_e32 v10, v91
	v_pk_mul_f32 v[2:3], v[72:73], v[2:3] op_sel:[1,0] op_sel_hi:[0,1]
	v_mov_b32_e32 v4, v5
	v_pk_mul_f32 v[10:11], v[88:89], v[10:11] op_sel:[1,0] op_sel_hi:[0,1]
	v_pk_fma_f32 v[2:3], v[72:73], v[74:75], v[2:3] neg_lo:[0,0,1] neg_hi:[0,0,1]
	v_pk_fma_f32 v[4:5], v[72:73], v[74:75], v[4:5] op_sel:[1,0,0] op_sel_hi:[0,1,1]
	v_pk_fma_f32 v[74:75], v[88:89], v[90:91], v[10:11] neg_lo:[0,0,1] neg_hi:[0,0,1]
	v_pk_mul_f32 v[10:11], v[88:89], v[90:91] op_sel:[1,0] op_sel_hi:[0,1]
	v_mov_b32_e32 v10, v11
	v_pk_fma_f32 v[78:79], v[88:89], v[90:91], v[10:11] op_sel:[1,0,0] op_sel_hi:[0,1,1]
	v_mov_b32_e32 v10, v87
	v_pk_mul_f32 v[10:11], v[84:85], v[10:11] op_sel:[1,0] op_sel_hi:[0,1]
	v_pk_fma_f32 v[76:77], v[84:85], v[86:87], v[10:11] neg_lo:[0,0,1] neg_hi:[0,0,1]
	v_pk_mul_f32 v[10:11], v[84:85], v[86:87] op_sel:[1,0] op_sel_hi:[0,1]
	v_mov_b32_e32 v10, v11
	v_pk_fma_f32 v[88:89], v[84:85], v[86:87], v[10:11] op_sel:[1,0,0] op_sel_hi:[0,1,1]
	v_mov_b32_e32 v10, v99
	s_mov_b32 s1, 0x3f62ad3f
	s_mov_b32 s0, 0xbeedf032
	v_pk_mul_f32 v[10:11], v[96:97], v[10:11] op_sel:[1,0] op_sel_hi:[0,1]
	s_mov_b32 s2, s1
	s_mov_b32 s3, s0
	v_pk_fma_f32 v[84:85], v[96:97], v[98:99], v[10:11] neg_lo:[0,0,1] neg_hi:[0,0,1]
	v_pk_mul_f32 v[10:11], v[96:97], v[98:99] op_sel:[1,0] op_sel_hi:[0,1]
	v_pk_mul_f32 v[66:67], v[8:9], s[2:3]
	v_mov_b32_e32 v10, v11
	v_pk_fma_f32 v[34:35], v[6:7], s[0:1], v[66:67] neg_lo:[1,0,0] neg_hi:[1,0,0]
	v_pk_fma_f32 v[82:83], v[6:7], s[0:1], v[66:67]
	v_mov_b32_e32 v27, v29
	v_pk_fma_f32 v[86:87], v[96:97], v[98:99], v[10:11] op_sel:[1,0,0] op_sel_hi:[0,1,1]
	v_mov_b32_e32 v10, v95
	v_mov_b32_e32 v35, v83
	s_mov_b32 s2, 0xbf52af12
	v_pk_mul_f32 v[10:11], v[92:93], v[10:11] op_sel:[1,0] op_sel_hi:[0,1]
	v_pk_add_f32 v[50:51], v[26:27], v[34:35]
	v_pk_add_f32 v[34:35], v[52:53], v[36:37]
	v_pk_add_f32 v[36:37], v[52:53], v[36:37] neg_lo:[0,1] neg_hi:[0,1]
	s_mov_b32 s3, 0x3f116cb1
	v_pk_fma_f32 v[54:55], v[92:93], v[94:95], v[10:11] neg_lo:[0,0,1] neg_hi:[0,0,1]
	v_pk_mul_f32 v[10:11], v[92:93], v[94:95] op_sel:[1,0] op_sel_hi:[0,1]
	v_mov_b32_e32 v35, v36
	v_pk_add_f32 v[36:37], v[24:25], v[44:45] neg_lo:[0,1] neg_hi:[0,1]
	v_pk_add_f32 v[44:45], v[24:25], v[44:45]
	s_mov_b32 s6, s3
	s_mov_b32 s7, s2
	v_mov_b32_e32 v10, v11
	v_mov_b32_e32 v24, v36
	;; [unrolled: 1-line block ×3, first 2 shown]
	v_pk_mul_f32 v[90:91], v[34:35], s[6:7]
	v_pk_fma_f32 v[58:59], v[92:93], v[94:95], v[10:11] op_sel:[1,0,0] op_sel_hi:[0,1,1]
	v_pk_fma_f32 v[44:45], v[36:37], s[2:3], v[90:91] neg_lo:[1,0,0] neg_hi:[1,0,0]
	v_pk_fma_f32 v[92:93], v[24:25], s[2:3], v[90:91]
	s_mov_b32 s16, 0xbf7e222b
	v_mov_b32_e32 v45, v93
	v_pk_add_f32 v[50:51], v[44:45], v[50:51]
	v_pk_add_f32 v[44:45], v[120:121], v[46:47]
	v_pk_add_f32 v[46:47], v[120:121], v[46:47] neg_lo:[0,1] neg_hi:[0,1]
	s_mov_b32 s17, 0x3df6dbef
	v_mov_b32_e32 v45, v46
	v_pk_add_f32 v[46:47], v[122:123], v[32:33] neg_lo:[0,1] neg_hi:[0,1]
	v_pk_add_f32 v[52:53], v[122:123], v[32:33]
	s_mov_b32 s22, s17
	s_mov_b32 s23, s16
	v_mov_b32_e32 v10, v109
	v_mov_b32_e32 v32, v46
	;; [unrolled: 1-line block ×3, first 2 shown]
	v_pk_mul_f32 v[94:95], v[44:45], s[22:23]
	v_pk_mul_f32 v[10:11], v[104:105], v[10:11] op_sel:[1,0] op_sel_hi:[0,1]
	v_pk_fma_f32 v[52:53], v[46:47], s[16:17], v[94:95] neg_lo:[1,0,0] neg_hi:[1,0,0]
	v_pk_fma_f32 v[96:97], v[32:33], s[16:17], v[94:95]
	v_pk_fma_f32 v[22:23], v[104:105], v[108:109], v[10:11] neg_lo:[0,0,1] neg_hi:[0,0,1]
	v_pk_mul_f32 v[10:11], v[104:105], v[108:109] op_sel:[1,0] op_sel_hi:[0,1]
	v_mov_b32_e32 v53, v97
	s_mov_b32 s4, 0xbf6f5d39
	v_mov_b32_e32 v10, v11
	v_pk_add_f32 v[60:61], v[52:53], v[50:51]
	v_pk_add_f32 v[50:51], v[124:125], v[134:135]
	v_pk_add_f32 v[52:53], v[124:125], v[134:135] neg_lo:[0,1] neg_hi:[0,1]
	s_mov_b32 s5, 0xbeb58ec6
	v_pk_fma_f32 v[30:31], v[104:105], v[108:109], v[10:11] op_sel:[1,0,0] op_sel_hi:[0,1,1]
	v_mov_b32_e32 v10, v103
	v_pk_mul_f32 v[12:13], v[100:101], v[102:103] op_sel:[1,0] op_sel_hi:[0,1]
	v_mov_b32_e32 v51, v52
	v_pk_add_f32 v[52:53], v[126:127], v[38:39] neg_lo:[0,1] neg_hi:[0,1]
	v_pk_add_f32 v[62:63], v[126:127], v[38:39]
	s_mov_b32 s14, s5
	s_mov_b32 s15, s4
	v_pk_mul_f32 v[10:11], v[100:101], v[10:11] op_sel:[1,0] op_sel_hi:[0,1]
	v_mov_b32_e32 v12, v13
	v_mov_b32_e32 v38, v52
	;; [unrolled: 1-line block ×3, first 2 shown]
	v_pk_mul_f32 v[98:99], v[50:51], s[14:15]
	v_pk_fma_f32 v[10:11], v[100:101], v[102:103], v[10:11] neg_lo:[0,0,1] neg_hi:[0,0,1]
	v_pk_fma_f32 v[14:15], v[100:101], v[102:103], v[12:13] op_sel:[1,0,0] op_sel_hi:[0,1,1]
	v_pk_fma_f32 v[62:63], v[52:53], s[4:5], v[98:99] neg_lo:[1,0,0] neg_hi:[1,0,0]
	v_pk_fma_f32 v[100:101], v[38:39], s[4:5], v[98:99]
	s_mov_b32 s18, 0xbf29c268
	v_mov_b32_e32 v63, v101
	v_pk_add_f32 v[60:61], v[62:63], v[60:61]
	v_pk_add_f32 v[62:63], v[128:129], v[48:49]
	v_pk_add_f32 v[48:49], v[128:129], v[48:49] neg_lo:[0,1] neg_hi:[0,1]
	s_mov_b32 s19, 0xbf3f9e67
	v_mov_b32_e32 v63, v48
	v_pk_add_f32 v[64:65], v[130:131], v[132:133] neg_lo:[0,1] neg_hi:[0,1]
	v_pk_add_f32 v[70:71], v[130:131], v[132:133]
	s_mov_b32 s26, s19
	s_mov_b32 s27, s18
	v_mov_b32_e32 v48, v64
	v_mov_b32_e32 v49, v70
	v_pk_mul_f32 v[102:103], v[62:63], s[26:27]
	v_pk_fma_f32 v[66:67], v[6:7], s[0:1], v[66:67] neg_lo:[0,0,1] neg_hi:[0,0,1]
	v_pk_fma_f32 v[70:71], v[64:65], s[18:19], v[102:103] neg_lo:[1,0,0] neg_hi:[1,0,0]
	v_pk_fma_f32 v[104:105], v[48:49], s[18:19], v[102:103]
	v_mov_b32_e32 v83, v67
	v_mov_b32_e32 v12, v111
	v_pk_mul_f32 v[16:17], v[106:107], v[110:111] op_sel:[1,0] op_sel_hi:[0,1]
	v_mov_b32_e32 v71, v105
	s_mov_b32 s12, 0xbe750f2a
	v_pk_add_f32 v[66:67], v[26:27], v[82:83]
	v_pk_fma_f32 v[82:83], v[24:25], s[2:3], v[90:91] neg_lo:[0,0,1] neg_hi:[0,0,1]
	v_pk_mul_f32 v[12:13], v[106:107], v[12:13] op_sel:[1,0] op_sel_hi:[0,1]
	v_mov_b32_e32 v16, v17
	v_pk_add_f32 v[60:61], v[70:71], v[60:61]
	v_pk_add_f32 v[70:71], v[114:115], v[118:119]
	v_pk_add_f32 v[72:73], v[114:115], v[118:119] neg_lo:[0,1] neg_hi:[0,1]
	s_mov_b32 s13, 0xbf788fa5
	v_mov_b32_e32 v93, v83
	v_pk_fma_f32 v[82:83], v[32:33], s[16:17], v[94:95] neg_lo:[0,0,1] neg_hi:[0,0,1]
	v_pk_fma_f32 v[12:13], v[106:107], v[110:111], v[12:13] neg_lo:[0,0,1] neg_hi:[0,0,1]
	v_pk_fma_f32 v[16:17], v[106:107], v[110:111], v[16:17] op_sel:[1,0,0] op_sel_hi:[0,1,1]
	v_mov_b32_e32 v71, v72
	v_pk_add_f32 v[72:73], v[56:57], v[116:117] neg_lo:[0,1] neg_hi:[0,1]
	v_pk_add_f32 v[106:107], v[56:57], v[116:117]
	s_mov_b32 s20, s13
	s_mov_b32 s21, s12
	v_pk_add_f32 v[66:67], v[92:93], v[66:67]
	v_mov_b32_e32 v97, v83
	v_pk_fma_f32 v[82:83], v[38:39], s[4:5], v[98:99] neg_lo:[0,0,1] neg_hi:[0,0,1]
	v_mov_b32_e32 v56, v72
	v_mov_b32_e32 v57, v106
	v_pk_mul_f32 v[106:107], v[70:71], s[20:21]
	v_pk_add_f32 v[66:67], v[96:97], v[66:67]
	v_mov_b32_e32 v101, v83
	v_pk_fma_f32 v[82:83], v[48:49], s[18:19], v[102:103] neg_lo:[0,0,1] neg_hi:[0,0,1]
	v_pk_fma_f32 v[108:109], v[72:73], s[12:13], v[106:107] neg_lo:[1,0,0] neg_hi:[1,0,0]
	v_pk_fma_f32 v[110:111], v[56:57], s[12:13], v[106:107]
	v_pk_add_f32 v[66:67], v[100:101], v[66:67]
	v_mov_b32_e32 v105, v83
	v_pk_fma_f32 v[82:83], v[56:57], s[12:13], v[106:107] neg_lo:[0,0,1] neg_hi:[0,0,1]
	v_mov_b32_e32 v109, v111
	v_pk_add_f32 v[66:67], v[104:105], v[66:67]
	v_mov_b32_e32 v111, v83
	v_pk_add_f32 v[82:83], v[110:111], v[66:67]
	s_mov_b32 s0, 0x3eedf032
	v_pk_mul_f32 v[90:91], v[82:83], v[136:137] op_sel_hi:[1,0]
	s_mov_b32 s24, s1
	v_pk_fma_f32 v[66:67], v[82:83], v[68:69], v[90:91] op_sel:[0,0,1] op_sel_hi:[1,1,0]
	v_pk_fma_f32 v[68:69], v[82:83], v[68:69], v[90:91] op_sel:[0,0,1] op_sel_hi:[1,0,0] neg_lo:[0,0,1] neg_hi:[0,0,1]
	v_pk_mul_f32 v[82:83], v[8:9], s[20:21]
	s_mov_b32 s25, s0
	v_pk_fma_f32 v[90:91], v[6:7], s[12:13], v[82:83] neg_lo:[1,0,0] neg_hi:[1,0,0]
	v_pk_fma_f32 v[92:93], v[6:7], s[12:13], v[82:83]
	v_pk_mul_f32 v[94:95], v[34:35], s[24:25]
	v_mov_b32_e32 v91, v93
	v_pk_fma_f32 v[96:97], v[36:37], s[0:1], v[94:95] neg_lo:[1,0,0] neg_hi:[1,0,0]
	v_pk_fma_f32 v[98:99], v[24:25], s[0:1], v[94:95]
	v_pk_add_f32 v[90:91], v[26:27], v[90:91]
	v_mov_b32_e32 v97, v99
	v_pk_add_f32 v[90:91], v[96:97], v[90:91]
	v_pk_mul_f32 v[96:97], v[44:45], s[26:27]
	s_mov_b32 s34, 0x3f52af12
	v_pk_fma_f32 v[100:101], v[46:47], s[18:19], v[96:97] neg_lo:[1,0,0] neg_hi:[1,0,0]
	v_pk_fma_f32 v[102:103], v[32:33], s[18:19], v[96:97]
	s_mov_b32 s38, s3
	v_mov_b32_e32 v101, v103
	s_mov_b32 s39, s34
	v_pk_add_f32 v[90:91], v[100:101], v[90:91]
	s_mov_b32 s35, s3
	v_pk_mul_f32 v[100:101], v[50:51], s[38:39]
	v_pk_fma_f32 v[82:83], v[6:7], s[12:13], v[82:83] neg_lo:[0,0,1] neg_hi:[0,0,1]
	v_pk_fma_f32 v[104:105], v[52:53], s[34:35], v[100:101] neg_lo:[1,0,0] neg_hi:[1,0,0]
	v_pk_fma_f32 v[106:107], v[38:39], s[34:35], v[100:101]
	v_mov_b32_e32 v93, v83
	v_mov_b32_e32 v105, v107
	v_pk_add_f32 v[90:91], v[104:105], v[90:91]
	v_pk_mul_f32 v[104:105], v[62:63], s[14:15]
	v_pk_add_f32 v[82:83], v[26:27], v[92:93]
	v_pk_fma_f32 v[92:93], v[24:25], s[0:1], v[94:95] neg_lo:[0,0,1] neg_hi:[0,0,1]
	v_pk_add_f32 v[60:61], v[108:109], v[60:61]
	v_pk_fma_f32 v[108:109], v[64:65], s[4:5], v[104:105] neg_lo:[1,0,0] neg_hi:[1,0,0]
	v_pk_fma_f32 v[110:111], v[48:49], s[4:5], v[104:105]
	s_mov_b32 s28, 0x3f7e222b
	v_mov_b32_e32 v99, v93
	v_pk_fma_f32 v[92:93], v[32:33], s[18:19], v[96:97] neg_lo:[0,0,1] neg_hi:[0,0,1]
	v_mov_b32_e32 v109, v111
	s_mov_b32 s30, s17
	s_mov_b32 s31, s28
	v_pk_add_f32 v[82:83], v[98:99], v[82:83]
	v_mov_b32_e32 v103, v93
	v_pk_fma_f32 v[92:93], v[38:39], s[34:35], v[100:101] neg_lo:[0,0,1] neg_hi:[0,0,1]
	v_pk_add_f32 v[90:91], v[108:109], v[90:91]
	s_mov_b32 s29, s17
	v_pk_mul_f32 v[108:109], v[70:71], s[30:31]
	v_pk_add_f32 v[82:83], v[102:103], v[82:83]
	v_mov_b32_e32 v107, v93
	v_pk_fma_f32 v[92:93], v[48:49], s[4:5], v[104:105] neg_lo:[0,0,1] neg_hi:[0,0,1]
	v_pk_fma_f32 v[114:115], v[72:73], s[28:29], v[108:109] neg_lo:[1,0,0] neg_hi:[1,0,0]
	v_pk_fma_f32 v[116:117], v[56:57], s[28:29], v[108:109]
	v_pk_add_f32 v[82:83], v[106:107], v[82:83]
	v_mov_b32_e32 v111, v93
	v_pk_fma_f32 v[92:93], v[56:57], s[28:29], v[108:109] neg_lo:[0,0,1] neg_hi:[0,0,1]
	v_mov_b32_e32 v115, v117
	v_pk_add_f32 v[82:83], v[110:111], v[82:83]
	v_mov_b32_e32 v117, v93
	v_pk_add_f32 v[90:91], v[114:115], v[90:91]
	v_pk_add_f32 v[82:83], v[116:117], v[82:83]
	v_pk_mul_f32 v[88:89], v[90:91], v[88:89] op_sel_hi:[1,0]
	v_pk_mul_f32 v[92:93], v[82:83], v[78:79] op_sel_hi:[1,0]
	v_pk_mul_f32 v[94:95], v[34:35], s[30:31]
	v_pk_fma_f32 v[78:79], v[82:83], v[74:75], v[92:93] op_sel:[0,0,1] op_sel_hi:[1,1,0]
	v_pk_fma_f32 v[82:83], v[82:83], v[74:75], v[92:93] op_sel:[0,0,1] op_sel_hi:[1,0,0] neg_lo:[0,0,1] neg_hi:[0,0,1]
	v_pk_fma_f32 v[74:75], v[90:91], v[76:77], v[88:89] op_sel:[0,0,1] op_sel_hi:[1,1,0]
	v_pk_fma_f32 v[76:77], v[90:91], v[76:77], v[88:89] op_sel:[0,0,1] op_sel_hi:[1,0,0] neg_lo:[0,0,1] neg_hi:[0,0,1]
	v_pk_mul_f32 v[88:89], v[8:9], s[26:27]
	v_pk_fma_f32 v[96:97], v[36:37], s[28:29], v[94:95] neg_lo:[1,0,0] neg_hi:[1,0,0]
	v_pk_fma_f32 v[90:91], v[6:7], s[18:19], v[88:89] neg_lo:[1,0,0] neg_hi:[1,0,0]
	v_pk_fma_f32 v[92:93], v[6:7], s[18:19], v[88:89]
	v_pk_fma_f32 v[98:99], v[24:25], s[28:29], v[94:95]
	v_mov_b32_e32 v91, v93
	v_pk_add_f32 v[90:91], v[26:27], v[90:91]
	v_mov_b32_e32 v97, v99
	v_pk_add_f32 v[90:91], v[96:97], v[90:91]
	v_pk_mul_f32 v[96:97], v[44:45], s[6:7]
	s_mov_b32 s42, 0x3e750f2a
	v_pk_fma_f32 v[100:101], v[46:47], s[2:3], v[96:97] neg_lo:[1,0,0] neg_hi:[1,0,0]
	v_pk_fma_f32 v[102:103], v[32:33], s[2:3], v[96:97]
	s_mov_b32 s44, s13
	v_mov_b32_e32 v101, v103
	s_mov_b32 s45, s42
	v_pk_add_f32 v[90:91], v[100:101], v[90:91]
	s_mov_b32 s43, s13
	v_pk_mul_f32 v[100:101], v[50:51], s[44:45]
	v_pk_fma_f32 v[88:89], v[6:7], s[18:19], v[88:89] neg_lo:[0,0,1] neg_hi:[0,0,1]
	v_pk_fma_f32 v[104:105], v[52:53], s[42:43], v[100:101] neg_lo:[1,0,0] neg_hi:[1,0,0]
	v_pk_fma_f32 v[106:107], v[38:39], s[42:43], v[100:101]
	v_mov_b32_e32 v93, v89
	v_mov_b32_e32 v105, v107
	v_pk_add_f32 v[90:91], v[104:105], v[90:91]
	v_pk_mul_f32 v[104:105], v[62:63], s[24:25]
	v_pk_add_f32 v[88:89], v[26:27], v[92:93]
	v_pk_fma_f32 v[108:109], v[64:65], s[0:1], v[104:105] neg_lo:[1,0,0] neg_hi:[1,0,0]
	v_pk_fma_f32 v[110:111], v[48:49], s[0:1], v[104:105]
	s_mov_b32 s36, 0x3f29c268
	v_mov_b32_e32 v109, v111
	v_pk_add_f32 v[90:91], v[108:109], v[90:91]
	v_pk_mul_f32 v[108:109], v[70:71], s[14:15]
	s_mov_b32 s40, s19
	v_pk_fma_f32 v[114:115], v[72:73], s[4:5], v[108:109] neg_lo:[1,0,0] neg_hi:[1,0,0]
	v_pk_fma_f32 v[116:117], v[56:57], s[4:5], v[108:109]
	s_mov_b32 s41, s36
	v_mov_b32_e32 v115, v117
	v_pk_add_f32 v[114:115], v[114:115], v[90:91]
	v_pk_fma_f32 v[90:91], v[24:25], s[28:29], v[94:95] neg_lo:[0,0,1] neg_hi:[0,0,1]
	v_pk_mul_f32 v[86:87], v[114:115], v[86:87] op_sel_hi:[1,0]
	v_mov_b32_e32 v99, v91
	v_pk_fma_f32 v[90:91], v[32:33], s[2:3], v[96:97] neg_lo:[0,0,1] neg_hi:[0,0,1]
	v_pk_add_f32 v[88:89], v[98:99], v[88:89]
	v_mov_b32_e32 v103, v91
	v_pk_fma_f32 v[90:91], v[38:39], s[42:43], v[100:101] neg_lo:[0,0,1] neg_hi:[0,0,1]
	v_pk_add_f32 v[88:89], v[102:103], v[88:89]
	;; [unrolled: 3-line block ×4, first 2 shown]
	v_mov_b32_e32 v117, v91
	v_pk_add_f32 v[90:91], v[116:117], v[88:89]
	s_mov_b32 s37, s19
	v_pk_mul_f32 v[92:93], v[90:91], v[112:113] op_sel_hi:[1,0]
	v_pk_mul_f32 v[96:97], v[34:35], s[40:41]
	v_pk_fma_f32 v[88:89], v[90:91], v[80:81], v[92:93] op_sel:[0,0,1] op_sel_hi:[1,1,0]
	v_pk_fma_f32 v[90:91], v[90:91], v[80:81], v[92:93] op_sel:[0,0,1] op_sel_hi:[1,0,0] neg_lo:[0,0,1] neg_hi:[0,0,1]
	v_pk_fma_f32 v[80:81], v[114:115], v[84:85], v[86:87] op_sel:[0,0,1] op_sel_hi:[1,1,0]
	v_pk_fma_f32 v[84:85], v[114:115], v[84:85], v[86:87] op_sel:[0,0,1] op_sel_hi:[1,0,0] neg_lo:[0,0,1] neg_hi:[0,0,1]
	v_pk_mul_f32 v[86:87], v[8:9], s[14:15]
	v_pk_fma_f32 v[98:99], v[36:37], s[36:37], v[96:97] neg_lo:[1,0,0] neg_hi:[1,0,0]
	v_pk_fma_f32 v[92:93], v[6:7], s[4:5], v[86:87] neg_lo:[1,0,0] neg_hi:[1,0,0]
	v_pk_fma_f32 v[94:95], v[6:7], s[4:5], v[86:87]
	v_pk_fma_f32 v[100:101], v[24:25], s[36:37], v[96:97]
	v_mov_b32_e32 v93, v95
	v_pk_add_f32 v[92:93], v[26:27], v[92:93]
	v_mov_b32_e32 v99, v101
	v_pk_add_f32 v[92:93], v[98:99], v[92:93]
	v_pk_mul_f32 v[98:99], v[44:45], s[24:25]
	v_pk_fma_f32 v[86:87], v[6:7], s[4:5], v[86:87] neg_lo:[0,0,1] neg_hi:[0,0,1]
	v_pk_fma_f32 v[102:103], v[46:47], s[0:1], v[98:99] neg_lo:[1,0,0] neg_hi:[1,0,0]
	v_pk_fma_f32 v[104:105], v[32:33], s[0:1], v[98:99]
	v_mov_b32_e32 v95, v87
	v_mov_b32_e32 v103, v105
	v_pk_add_f32 v[92:93], v[102:103], v[92:93]
	v_pk_mul_f32 v[102:103], v[50:51], s[22:23]
	v_pk_add_f32 v[86:87], v[26:27], v[94:95]
	v_pk_fma_f32 v[106:107], v[52:53], s[16:17], v[102:103] neg_lo:[1,0,0] neg_hi:[1,0,0]
	v_pk_fma_f32 v[108:109], v[38:39], s[16:17], v[102:103]
	v_pk_fma_f32 v[94:95], v[24:25], s[36:37], v[96:97] neg_lo:[0,0,1] neg_hi:[0,0,1]
	v_mov_b32_e32 v107, v109
	v_pk_add_f32 v[92:93], v[106:107], v[92:93]
	v_pk_mul_f32 v[106:107], v[62:63], s[44:45]
	v_mov_b32_e32 v101, v95
	v_pk_fma_f32 v[110:111], v[64:65], s[42:43], v[106:107] neg_lo:[1,0,0] neg_hi:[1,0,0]
	v_pk_fma_f32 v[112:113], v[48:49], s[42:43], v[106:107]
	v_pk_fma_f32 v[94:95], v[32:33], s[0:1], v[98:99] neg_lo:[0,0,1] neg_hi:[0,0,1]
	v_mov_b32_e32 v111, v113
	v_pk_add_f32 v[86:87], v[100:101], v[86:87]
	v_mov_b32_e32 v105, v95
	v_pk_fma_f32 v[94:95], v[38:39], s[16:17], v[102:103] neg_lo:[0,0,1] neg_hi:[0,0,1]
	v_pk_add_f32 v[92:93], v[110:111], v[92:93]
	v_pk_mul_f32 v[110:111], v[70:71], s[38:39]
	v_pk_add_f32 v[86:87], v[104:105], v[86:87]
	v_mov_b32_e32 v109, v95
	v_pk_fma_f32 v[94:95], v[48:49], s[42:43], v[106:107] neg_lo:[0,0,1] neg_hi:[0,0,1]
	v_pk_fma_f32 v[114:115], v[72:73], s[34:35], v[110:111] neg_lo:[1,0,0] neg_hi:[1,0,0]
	v_pk_fma_f32 v[116:117], v[56:57], s[34:35], v[110:111]
	v_pk_add_f32 v[86:87], v[108:109], v[86:87]
	v_mov_b32_e32 v113, v95
	v_pk_fma_f32 v[94:95], v[56:57], s[34:35], v[110:111] neg_lo:[0,0,1] neg_hi:[0,0,1]
	v_mov_b32_e32 v115, v117
	v_pk_add_f32 v[86:87], v[112:113], v[86:87]
	v_mov_b32_e32 v117, v95
	v_pk_add_f32 v[86:87], v[116:117], v[86:87]
	v_pk_add_f32 v[92:93], v[114:115], v[92:93]
	v_pk_mul_f32 v[42:43], v[86:87], v[42:43] op_sel_hi:[1,0]
	v_pk_mul_f32 v[96:97], v[34:35], s[20:21]
	v_pk_fma_f32 v[94:95], v[86:87], v[40:41], v[42:43] op_sel:[0,0,1] op_sel_hi:[1,1,0]
	v_pk_fma_f32 v[40:41], v[86:87], v[40:41], v[42:43] op_sel:[0,0,1] op_sel_hi:[1,0,0] neg_lo:[0,0,1] neg_hi:[0,0,1]
	v_pk_mul_f32 v[42:43], v[92:93], v[58:59] op_sel_hi:[1,0]
	v_pk_fma_f32 v[98:99], v[36:37], s[12:13], v[96:97] neg_lo:[1,0,0] neg_hi:[1,0,0]
	v_pk_fma_f32 v[58:59], v[92:93], v[54:55], v[42:43] op_sel:[0,0,1] op_sel_hi:[1,1,0]
	v_pk_fma_f32 v[42:43], v[92:93], v[54:55], v[42:43] op_sel:[0,0,1] op_sel_hi:[1,0,0] neg_lo:[0,0,1] neg_hi:[0,0,1]
	v_pk_mul_f32 v[54:55], v[8:9], s[22:23]
	v_pk_fma_f32 v[100:101], v[24:25], s[12:13], v[96:97]
	v_pk_fma_f32 v[86:87], v[6:7], s[16:17], v[54:55] neg_lo:[1,0,0] neg_hi:[1,0,0]
	v_pk_fma_f32 v[92:93], v[6:7], s[16:17], v[54:55]
	s_mov_b32 s22, 0x3f6f5d39
	v_mov_b32_e32 v87, v93
	v_pk_add_f32 v[86:87], v[26:27], v[86:87]
	v_mov_b32_e32 v99, v101
	s_mov_b32 s34, s5
	s_mov_b32 s35, s22
	v_pk_add_f32 v[86:87], v[98:99], v[86:87]
	s_mov_b32 s23, s5
	v_pk_mul_f32 v[98:99], v[44:45], s[34:35]
	v_pk_fma_f32 v[54:55], v[6:7], s[16:17], v[54:55] neg_lo:[0,0,1] neg_hi:[0,0,1]
	v_pk_fma_f32 v[102:103], v[46:47], s[22:23], v[98:99] neg_lo:[1,0,0] neg_hi:[1,0,0]
	v_pk_fma_f32 v[104:105], v[32:33], s[22:23], v[98:99]
	v_mov_b32_e32 v93, v55
	v_mov_b32_e32 v103, v105
	v_pk_add_f32 v[86:87], v[102:103], v[86:87]
	v_pk_mul_f32 v[102:103], v[50:51], s[24:25]
	v_pk_add_f32 v[54:55], v[26:27], v[92:93]
	v_pk_fma_f32 v[106:107], v[52:53], s[0:1], v[102:103] neg_lo:[1,0,0] neg_hi:[1,0,0]
	v_pk_fma_f32 v[108:109], v[38:39], s[0:1], v[102:103]
	v_pk_fma_f32 v[92:93], v[24:25], s[12:13], v[96:97] neg_lo:[0,0,1] neg_hi:[0,0,1]
	v_mov_b32_e32 v107, v109
	v_pk_add_f32 v[86:87], v[106:107], v[86:87]
	v_pk_mul_f32 v[106:107], v[62:63], s[6:7]
	v_mov_b32_e32 v101, v93
	v_pk_fma_f32 v[110:111], v[64:65], s[2:3], v[106:107] neg_lo:[1,0,0] neg_hi:[1,0,0]
	v_pk_fma_f32 v[112:113], v[48:49], s[2:3], v[106:107]
	v_pk_fma_f32 v[92:93], v[32:33], s[22:23], v[98:99] neg_lo:[0,0,1] neg_hi:[0,0,1]
	v_mov_b32_e32 v111, v113
	v_pk_add_f32 v[54:55], v[100:101], v[54:55]
	v_mov_b32_e32 v105, v93
	v_pk_fma_f32 v[92:93], v[38:39], s[0:1], v[102:103] neg_lo:[0,0,1] neg_hi:[0,0,1]
	v_pk_add_f32 v[86:87], v[110:111], v[86:87]
	v_pk_mul_f32 v[110:111], v[70:71], s[26:27]
	v_pk_add_f32 v[54:55], v[104:105], v[54:55]
	v_mov_b32_e32 v109, v93
	v_pk_fma_f32 v[92:93], v[48:49], s[2:3], v[106:107] neg_lo:[0,0,1] neg_hi:[0,0,1]
	v_pk_fma_f32 v[114:115], v[72:73], s[18:19], v[110:111] neg_lo:[1,0,0] neg_hi:[1,0,0]
	v_pk_fma_f32 v[116:117], v[56:57], s[18:19], v[110:111]
	v_pk_add_f32 v[54:55], v[108:109], v[54:55]
	v_mov_b32_e32 v113, v93
	v_pk_fma_f32 v[92:93], v[56:57], s[18:19], v[110:111] neg_lo:[0,0,1] neg_hi:[0,0,1]
	v_mov_b32_e32 v115, v117
	v_pk_add_f32 v[54:55], v[112:113], v[54:55]
	v_mov_b32_e32 v117, v93
	v_pk_add_f32 v[54:55], v[116:117], v[54:55]
	v_pk_add_f32 v[86:87], v[114:115], v[86:87]
	v_pk_mul_f32 v[20:21], v[54:55], v[20:21] op_sel_hi:[1,0]
	v_pk_mul_f32 v[8:9], v[8:9], s[6:7]
	v_pk_fma_f32 v[92:93], v[54:55], v[18:19], v[20:21] op_sel:[0,0,1] op_sel_hi:[1,1,0]
	v_pk_fma_f32 v[18:19], v[54:55], v[18:19], v[20:21] op_sel:[0,0,1] op_sel_hi:[1,0,0] neg_lo:[0,0,1] neg_hi:[0,0,1]
	v_pk_mul_f32 v[20:21], v[86:87], v[30:31] op_sel_hi:[1,0]
	v_pk_fma_f32 v[54:55], v[6:7], s[2:3], v[8:9]
	v_pk_fma_f32 v[30:31], v[86:87], v[22:23], v[20:21] op_sel:[0,0,1] op_sel_hi:[1,1,0]
	v_pk_fma_f32 v[20:21], v[86:87], v[22:23], v[20:21] op_sel:[0,0,1] op_sel_hi:[1,0,0] neg_lo:[0,0,1] neg_hi:[0,0,1]
	v_pk_fma_f32 v[22:23], v[6:7], s[2:3], v[8:9] neg_lo:[1,0,0] neg_hi:[1,0,0]
	v_pk_mul_f32 v[34:35], v[34:35], s[14:15]
	v_mov_b32_e32 v23, v55
	v_pk_fma_f32 v[36:37], v[36:37], s[4:5], v[34:35] neg_lo:[1,0,0] neg_hi:[1,0,0]
	v_pk_fma_f32 v[86:87], v[24:25], s[4:5], v[34:35]
	v_pk_add_f32 v[22:23], v[26:27], v[22:23]
	v_mov_b32_e32 v37, v87
	v_pk_add_f32 v[22:23], v[36:37], v[22:23]
	v_pk_mul_f32 v[36:37], v[44:45], s[20:21]
	v_pk_fma_f32 v[6:7], v[6:7], s[2:3], v[8:9] neg_lo:[0,0,1] neg_hi:[0,0,1]
	v_pk_fma_f32 v[44:45], v[46:47], s[12:13], v[36:37] neg_lo:[1,0,0] neg_hi:[1,0,0]
	v_pk_fma_f32 v[46:47], v[32:33], s[12:13], v[36:37]
	v_mov_b32_e32 v55, v7
	v_mov_b32_e32 v45, v47
	v_pk_add_f32 v[22:23], v[44:45], v[22:23]
	v_pk_mul_f32 v[44:45], v[50:51], s[40:41]
	v_pk_fma_f32 v[8:9], v[24:25], s[4:5], v[34:35] neg_lo:[0,0,1] neg_hi:[0,0,1]
	v_pk_fma_f32 v[50:51], v[52:53], s[36:37], v[44:45] neg_lo:[1,0,0] neg_hi:[1,0,0]
	v_pk_fma_f32 v[52:53], v[38:39], s[36:37], v[44:45]
	v_pk_add_f32 v[6:7], v[26:27], v[54:55]
	v_mov_b32_e32 v51, v53
	v_pk_add_f32 v[22:23], v[50:51], v[22:23]
	v_pk_mul_f32 v[50:51], v[62:63], s[30:31]
	v_mov_b32_e32 v87, v9
	v_pk_fma_f32 v[62:63], v[64:65], s[28:29], v[50:51] neg_lo:[1,0,0] neg_hi:[1,0,0]
	v_pk_fma_f32 v[64:65], v[48:49], s[28:29], v[50:51]
	v_pk_fma_f32 v[8:9], v[32:33], s[12:13], v[36:37] neg_lo:[0,0,1] neg_hi:[0,0,1]
	v_mov_b32_e32 v63, v65
	v_pk_add_f32 v[6:7], v[86:87], v[6:7]
	v_mov_b32_e32 v47, v9
	v_pk_fma_f32 v[8:9], v[38:39], s[36:37], v[44:45] neg_lo:[0,0,1] neg_hi:[0,0,1]
	v_pk_add_f32 v[22:23], v[62:63], v[22:23]
	v_pk_mul_f32 v[62:63], v[70:71], s[24:25]
	v_pk_add_f32 v[6:7], v[46:47], v[6:7]
	v_mov_b32_e32 v53, v9
	v_pk_fma_f32 v[8:9], v[48:49], s[28:29], v[50:51] neg_lo:[0,0,1] neg_hi:[0,0,1]
	v_pk_fma_f32 v[70:71], v[72:73], s[0:1], v[62:63] neg_lo:[1,0,0] neg_hi:[1,0,0]
	v_pk_fma_f32 v[72:73], v[56:57], s[0:1], v[62:63]
	v_pk_add_f32 v[6:7], v[52:53], v[6:7]
	v_mov_b32_e32 v65, v9
	v_pk_fma_f32 v[8:9], v[56:57], s[0:1], v[62:63] neg_lo:[0,0,1] neg_hi:[0,0,1]
	v_mov_b32_e32 v71, v73
	v_pk_add_f32 v[6:7], v[64:65], v[6:7]
	v_mov_b32_e32 v73, v9
	v_pk_add_f32 v[6:7], v[72:73], v[6:7]
	v_pk_add_f32 v[22:23], v[70:71], v[22:23]
	v_pk_mul_f32 v[4:5], v[6:7], v[4:5] op_sel_hi:[1,0]
	v_mov_b32_e32 v67, v69
	v_pk_fma_f32 v[8:9], v[6:7], v[2:3], v[4:5] op_sel:[0,0,1] op_sel_hi:[1,1,0]
	v_pk_fma_f32 v[2:3], v[6:7], v[2:3], v[4:5] op_sel:[0,0,1] op_sel_hi:[1,0,0] neg_lo:[0,0,1] neg_hi:[0,0,1]
	v_pk_mul_f32 v[4:5], v[22:23], v[14:15] op_sel_hi:[1,0]
	v_lshrrev_b32_e32 v2, 4, v140
	v_mul_u32_u24_e32 v2, 0xc0, v2
	v_pk_fma_f32 v[6:7], v[22:23], v[10:11], v[4:5] op_sel:[0,0,1] op_sel_hi:[1,1,0]
	v_pk_fma_f32 v[4:5], v[22:23], v[10:11], v[4:5] op_sel:[0,0,1] op_sel_hi:[1,0,0] neg_lo:[0,0,1] neg_hi:[0,0,1]
	v_pk_mul_f32 v[10:11], v[60:61], v[16:17] op_sel_hi:[1,0]
	v_or_b32_e32 v2, v2, v140
	v_pk_fma_f32 v[14:15], v[60:61], v[12:13], v[10:11] op_sel:[0,0,1] op_sel_hi:[1,1,0]
	v_pk_fma_f32 v[10:11], v[60:61], v[12:13], v[10:11] op_sel:[0,0,1] op_sel_hi:[1,0,0] neg_lo:[0,0,1] neg_hi:[0,0,1]
	v_mad_u64_u32 v[12:13], s[0:1], s10, v2, v[28:29]
	v_mov_b32_e32 v13, 0
	v_lshl_add_u64 v[16:17], v[12:13], 3, s[8:9]
	global_store_dwordx2 v[16:17], v[0:1], off
	v_add_u32_e32 v0, 16, v2
	v_mad_u64_u32 v[0:1], s[0:1], s10, v0, v[28:29]
	v_mov_b32_e32 v1, v13
	v_lshl_add_u64 v[0:1], v[0:1], 3, s[8:9]
	global_store_dwordx2 v[0:1], v[66:67], off
	v_or_b32_e32 v0, 32, v2
	v_mad_u64_u32 v[0:1], s[0:1], s10, v0, v[28:29]
	v_mov_b32_e32 v1, v13
	v_lshl_add_u64 v[0:1], v[0:1], 3, s[8:9]
	v_mov_b32_e32 v9, v3
	global_store_dwordx2 v[0:1], v[8:9], off
	v_add_u32_e32 v0, 48, v2
	v_mad_u64_u32 v[0:1], s[0:1], s10, v0, v[28:29]
	v_mov_b32_e32 v1, v13
	v_lshl_add_u64 v[0:1], v[0:1], 3, s[8:9]
	v_mov_b32_e32 v93, v19
	global_store_dwordx2 v[0:1], v[92:93], off
	v_add_u32_e32 v0, 64, v2
	;; [unrolled: 6-line block ×10, first 2 shown]
	v_mad_u64_u32 v[0:1], s[0:1], s10, v0, v[28:29]
	v_mov_b32_e32 v1, v13
	v_lshl_add_u64 v[0:1], v[0:1], 3, s[8:9]
	v_mov_b32_e32 v15, v11
	global_store_dwordx2 v[0:1], v[14:15], off
.LBB0_44:
	s_endpgm
	.section	.rodata,"a",@progbits
	.p2align	6, 0x0
	.amdhsa_kernel fft_rtc_back_len208_factors_2_8_13_wgs_247_tpt_13_dim3_sp_ip_CI_sbcc_twdbase8_2step_dirReg_intrinsicReadWrite
		.amdhsa_group_segment_fixed_size 0
		.amdhsa_private_segment_fixed_size 0
		.amdhsa_kernarg_size 88
		.amdhsa_user_sgpr_count 2
		.amdhsa_user_sgpr_dispatch_ptr 0
		.amdhsa_user_sgpr_queue_ptr 0
		.amdhsa_user_sgpr_kernarg_segment_ptr 1
		.amdhsa_user_sgpr_dispatch_id 0
		.amdhsa_user_sgpr_kernarg_preload_length 0
		.amdhsa_user_sgpr_kernarg_preload_offset 0
		.amdhsa_user_sgpr_private_segment_size 0
		.amdhsa_uses_dynamic_stack 0
		.amdhsa_enable_private_segment 0
		.amdhsa_system_sgpr_workgroup_id_x 1
		.amdhsa_system_sgpr_workgroup_id_y 0
		.amdhsa_system_sgpr_workgroup_id_z 0
		.amdhsa_system_sgpr_workgroup_info 0
		.amdhsa_system_vgpr_workitem_id 0
		.amdhsa_next_free_vgpr 280
		.amdhsa_next_free_sgpr 50
		.amdhsa_accum_offset 256
		.amdhsa_reserve_vcc 1
		.amdhsa_float_round_mode_32 0
		.amdhsa_float_round_mode_16_64 0
		.amdhsa_float_denorm_mode_32 3
		.amdhsa_float_denorm_mode_16_64 3
		.amdhsa_dx10_clamp 1
		.amdhsa_ieee_mode 1
		.amdhsa_fp16_overflow 0
		.amdhsa_tg_split 0
		.amdhsa_exception_fp_ieee_invalid_op 0
		.amdhsa_exception_fp_denorm_src 0
		.amdhsa_exception_fp_ieee_div_zero 0
		.amdhsa_exception_fp_ieee_overflow 0
		.amdhsa_exception_fp_ieee_underflow 0
		.amdhsa_exception_fp_ieee_inexact 0
		.amdhsa_exception_int_div_zero 0
	.end_amdhsa_kernel
	.text
.Lfunc_end0:
	.size	fft_rtc_back_len208_factors_2_8_13_wgs_247_tpt_13_dim3_sp_ip_CI_sbcc_twdbase8_2step_dirReg_intrinsicReadWrite, .Lfunc_end0-fft_rtc_back_len208_factors_2_8_13_wgs_247_tpt_13_dim3_sp_ip_CI_sbcc_twdbase8_2step_dirReg_intrinsicReadWrite
                                        ; -- End function
	.section	.AMDGPU.csdata,"",@progbits
; Kernel info:
; codeLenInByte = 14544
; NumSgprs: 56
; NumVgprs: 256
; NumAgprs: 24
; TotalNumVgprs: 280
; ScratchSize: 0
; MemoryBound: 0
; FloatMode: 240
; IeeeMode: 1
; LDSByteSize: 0 bytes/workgroup (compile time only)
; SGPRBlocks: 6
; VGPRBlocks: 34
; NumSGPRsForWavesPerEU: 56
; NumVGPRsForWavesPerEU: 280
; AccumOffset: 256
; Occupancy: 1
; WaveLimiterHint : 1
; COMPUTE_PGM_RSRC2:SCRATCH_EN: 0
; COMPUTE_PGM_RSRC2:USER_SGPR: 2
; COMPUTE_PGM_RSRC2:TRAP_HANDLER: 0
; COMPUTE_PGM_RSRC2:TGID_X_EN: 1
; COMPUTE_PGM_RSRC2:TGID_Y_EN: 0
; COMPUTE_PGM_RSRC2:TGID_Z_EN: 0
; COMPUTE_PGM_RSRC2:TIDIG_COMP_CNT: 0
; COMPUTE_PGM_RSRC3_GFX90A:ACCUM_OFFSET: 63
; COMPUTE_PGM_RSRC3_GFX90A:TG_SPLIT: 0
	.text
	.p2alignl 6, 3212836864
	.fill 256, 4, 3212836864
	.type	__hip_cuid_27ac1476d0b15991,@object ; @__hip_cuid_27ac1476d0b15991
	.section	.bss,"aw",@nobits
	.globl	__hip_cuid_27ac1476d0b15991
__hip_cuid_27ac1476d0b15991:
	.byte	0                               ; 0x0
	.size	__hip_cuid_27ac1476d0b15991, 1

	.ident	"AMD clang version 19.0.0git (https://github.com/RadeonOpenCompute/llvm-project roc-6.4.0 25133 c7fe45cf4b819c5991fe208aaa96edf142730f1d)"
	.section	".note.GNU-stack","",@progbits
	.addrsig
	.addrsig_sym __hip_cuid_27ac1476d0b15991
	.amdgpu_metadata
---
amdhsa.kernels:
  - .agpr_count:     24
    .args:
      - .actual_access:  read_only
        .address_space:  global
        .offset:         0
        .size:           8
        .value_kind:     global_buffer
      - .address_space:  global
        .offset:         8
        .size:           8
        .value_kind:     global_buffer
      - .actual_access:  read_only
        .address_space:  global
        .offset:         16
        .size:           8
        .value_kind:     global_buffer
      - .actual_access:  read_only
        .address_space:  global
        .offset:         24
        .size:           8
        .value_kind:     global_buffer
      - .offset:         32
        .size:           8
        .value_kind:     by_value
      - .actual_access:  read_only
        .address_space:  global
        .offset:         40
        .size:           8
        .value_kind:     global_buffer
      - .actual_access:  read_only
        .address_space:  global
        .offset:         48
        .size:           8
        .value_kind:     global_buffer
      - .offset:         56
        .size:           4
        .value_kind:     by_value
      - .actual_access:  read_only
        .address_space:  global
        .offset:         64
        .size:           8
        .value_kind:     global_buffer
      - .actual_access:  read_only
        .address_space:  global
        .offset:         72
        .size:           8
        .value_kind:     global_buffer
      - .address_space:  global
        .offset:         80
        .size:           8
        .value_kind:     global_buffer
    .group_segment_fixed_size: 0
    .kernarg_segment_align: 8
    .kernarg_segment_size: 88
    .language:       OpenCL C
    .language_version:
      - 2
      - 0
    .max_flat_workgroup_size: 247
    .name:           fft_rtc_back_len208_factors_2_8_13_wgs_247_tpt_13_dim3_sp_ip_CI_sbcc_twdbase8_2step_dirReg_intrinsicReadWrite
    .private_segment_fixed_size: 0
    .sgpr_count:     56
    .sgpr_spill_count: 0
    .symbol:         fft_rtc_back_len208_factors_2_8_13_wgs_247_tpt_13_dim3_sp_ip_CI_sbcc_twdbase8_2step_dirReg_intrinsicReadWrite.kd
    .uniform_work_group_size: 1
    .uses_dynamic_stack: false
    .vgpr_count:     280
    .vgpr_spill_count: 0
    .wavefront_size: 64
amdhsa.target:   amdgcn-amd-amdhsa--gfx950
amdhsa.version:
  - 1
  - 2
...

	.end_amdgpu_metadata
